;; amdgpu-corpus repo=ROCm/rocFFT kind=compiled arch=gfx1030 opt=O3
	.text
	.amdgcn_target "amdgcn-amd-amdhsa--gfx1030"
	.amdhsa_code_object_version 6
	.protected	bluestein_single_back_len408_dim1_dp_op_CI_CI ; -- Begin function bluestein_single_back_len408_dim1_dp_op_CI_CI
	.globl	bluestein_single_back_len408_dim1_dp_op_CI_CI
	.p2align	8
	.type	bluestein_single_back_len408_dim1_dp_op_CI_CI,@function
bluestein_single_back_len408_dim1_dp_op_CI_CI: ; @bluestein_single_back_len408_dim1_dp_op_CI_CI
; %bb.0:
	s_load_dwordx4 s[12:15], s[4:5], 0x28
	v_mul_u32_u24_e32 v1, 0xf10, v0
	s_mov_b64 s[62:63], s[2:3]
	s_mov_b64 s[60:61], s[0:1]
	s_add_u32 s60, s60, s7
	v_lshrrev_b32_e32 v1, 16, v1
	s_addc_u32 s61, s61, 0
	v_mad_u64_u32 v[73:74], null, s6, 3, v[1:2]
	v_mov_b32_e32 v74, 0
                                        ; kill: def $vgpr2 killed $sgpr0 killed $exec
	s_mov_b32 s0, exec_lo
	s_waitcnt lgkmcnt(0)
	v_cmpx_gt_u64_e64 s[12:13], v[73:74]
	s_cbranch_execz .LBB0_15
; %bb.1:
	s_clause 0x1
	s_load_dwordx4 s[8:11], s[4:5], 0x18
	s_load_dwordx2 s[6:7], s[4:5], 0x0
	v_mul_lo_u16 v1, v1, 17
	v_mov_b32_e32 v72, v73
	v_mul_hi_u32 v71, 0xaaaaaaab, v73
	v_sub_nc_u16 v2, v0, v1
	v_lshrrev_b32_e32 v71, 1, v71
	v_and_b32_e32 v214, 0xffff, v2
	v_lshl_add_u32 v71, v71, 1, v71
	v_or_b32_e32 v12, 0x60, v214
	v_or_b32_e32 v37, 0xc0, v214
	s_waitcnt lgkmcnt(0)
	s_load_dwordx4 s[0:3], s[8:9], 0x0
	v_lshlrev_b32_e32 v178, 4, v214
	v_or_b32_e32 v215, 0x120, v214
	s_clause 0x5
	global_load_dwordx4 v[173:176], v178, s[6:7]
	global_load_dwordx4 v[169:172], v178, s[6:7] offset:384
	global_load_dwordx4 v[165:168], v178, s[6:7] offset:768
	;; [unrolled: 1-line block ×5, first 2 shown]
	buffer_store_dword v12, off, s[60:63], 0 offset:196 ; 4-byte Folded Spill
	v_add_co_u32 v61, s8, s6, v178
	v_add_co_ci_u32_e64 v62, null, s7, 0, s8
	v_or_b32_e32 v38, 0x180, v214
	v_lshlrev_b32_e32 v39, 4, v38
	s_waitcnt lgkmcnt(0)
	v_mad_u64_u32 v[0:1], null, s2, v73, 0
	v_mad_u64_u32 v[3:4], null, s0, v214, 0
	;; [unrolled: 1-line block ×7, first 2 shown]
	v_mov_b32_e32 v4, v6
	v_mov_b32_e32 v6, v8
	;; [unrolled: 1-line block ×3, first 2 shown]
	s_mul_i32 s8, s1, 24
	s_mul_hi_u32 s9, s0, 24
	v_mad_u64_u32 v[11:12], null, s1, v12, v[4:5]
	v_mov_b32_e32 v4, v10
	v_lshlrev_b64 v[0:1], 4, v[0:1]
	v_mad_u64_u32 v[9:10], null, s1, v37, v[6:7]
	v_mov_b32_e32 v8, v28
	v_lshlrev_b64 v[3:4], 4, v[3:4]
	s_mul_i32 s2, s0, 24
	v_add_co_u32 v35, vcc_lo, s14, v0
	v_add_co_ci_u32_e32 v36, vcc_lo, s15, v1, vcc_lo
	s_mul_i32 s12, s1, 0x300
	v_add_co_u32 v0, vcc_lo, v35, v3
	s_mul_hi_u32 s13, s0, 0x300
	s_add_i32 s3, s9, s8
	v_add_co_ci_u32_e32 v1, vcc_lo, v36, v4, vcc_lo
	s_add_i32 s8, s13, s12
	s_lshl_b64 s[12:13], s[2:3], 4
	v_mad_u64_u32 v[28:29], null, s1, v215, v[8:9]
	v_mov_b32_e32 v8, v9
	v_add_co_u32 v9, vcc_lo, v0, s12
	v_mov_b32_e32 v6, v11
	v_add_co_ci_u32_e32 v10, vcc_lo, s13, v1, vcc_lo
	v_add_co_u32 v11, vcc_lo, v9, s12
	v_lshlrev_b64 v[3:4], 4, v[5:6]
	v_add_co_ci_u32_e32 v12, vcc_lo, s13, v10, vcc_lo
	v_add_co_u32 v15, vcc_lo, v11, s12
	s_mul_i32 s16, s0, 0x300
	v_add_co_ci_u32_e32 v16, vcc_lo, s13, v12, vcc_lo
	v_add_co_u32 v19, vcc_lo, v35, v3
	v_mad_u64_u32 v[31:32], null, s0, v38, 0
	v_add_co_ci_u32_e32 v20, vcc_lo, v36, v4, vcc_lo
	v_add_co_u32 v33, vcc_lo, v15, s16
	v_add_co_ci_u32_e32 v34, vcc_lo, s8, v16, vcc_lo
	v_lshlrev_b64 v[29:30], 4, v[7:8]
	s_clause 0x5
	global_load_dwordx4 v[3:6], v[0:1], off
	global_load_dwordx4 v[7:10], v[9:10], off
	;; [unrolled: 1-line block ×6, first 2 shown]
	v_add_co_u32 v0, vcc_lo, v33, s12
	v_mad_u64_u32 v[32:33], null, s1, v38, v[32:33]
	v_add_co_ci_u32_e32 v1, vcc_lo, s13, v34, vcc_lo
	v_add_co_u32 v63, vcc_lo, 0x800, v61
	v_add_co_ci_u32_e32 v64, vcc_lo, 0, v62, vcc_lo
	v_add_co_u32 v29, vcc_lo, v35, v29
	v_lshlrev_b64 v[33:34], 4, v[27:28]
	v_add_co_ci_u32_e32 v30, vcc_lo, v36, v30, vcc_lo
	v_add_co_u32 v43, vcc_lo, v0, s12
	v_lshlrev_b64 v[31:32], 4, v[31:32]
	v_add_co_ci_u32_e32 v44, vcc_lo, s13, v1, vcc_lo
	v_add_co_u32 v33, vcc_lo, v35, v33
	buffer_store_dword v37, off, s[60:63], 0 offset:200 ; 4-byte Folded Spill
	v_lshlrev_b32_e32 v37, 4, v37
	v_add_co_ci_u32_e32 v34, vcc_lo, v36, v34, vcc_lo
	v_add_co_u32 v35, vcc_lo, v35, v31
	v_add_co_ci_u32_e32 v36, vcc_lo, v36, v32, vcc_lo
	buffer_store_dword v37, off, s[60:63], 0 offset:492 ; 4-byte Folded Spill
	global_load_dwordx4 v[111:114], v37, s[6:7]
	v_lshlrev_b32_e32 v37, 4, v215
	v_add_co_u32 v47, vcc_lo, v43, s16
	v_add_co_ci_u32_e32 v48, vcc_lo, s8, v44, vcc_lo
	buffer_store_dword v38, off, s[60:63], 0 offset:204 ; 4-byte Folded Spill
	s_clause 0x1
	global_load_dwordx4 v[27:30], v[29:30], off
	global_load_dwordx4 v[31:34], v[33:34], off
	global_load_dwordx4 v[107:110], v37, s[6:7]
	global_load_dwordx4 v[35:38], v[35:36], off
	global_load_dwordx4 v[149:152], v[63:64], off offset:256
	buffer_store_dword v39, off, s[60:63], 0 offset:484 ; 4-byte Folded Spill
	global_load_dwordx4 v[117:120], v39, s[6:7]
	global_load_dwordx4 v[39:42], v[0:1], off
	v_add_co_u32 v0, vcc_lo, v47, s12
	v_add_co_ci_u32_e32 v1, vcc_lo, s13, v48, vcc_lo
	global_load_dwordx4 v[43:46], v[43:44], off
	v_add_co_u32 v59, vcc_lo, v0, s12
	v_add_co_ci_u32_e32 v60, vcc_lo, s13, v1, vcc_lo
	global_load_dwordx4 v[47:50], v[47:48], off
	s_clause 0x1
	global_load_dwordx4 v[153:156], v[63:64], off offset:640
	global_load_dwordx4 v[141:144], v[63:64], off offset:1408
	global_load_dwordx4 v[51:54], v[0:1], off
	global_load_dwordx4 v[55:58], v[59:60], off
	v_add_co_u32 v67, vcc_lo, 0x1000, v61
	buffer_store_dword v61, off, s[60:63], 0 offset:164 ; 4-byte Folded Spill
	buffer_store_dword v62, off, s[60:63], 0 offset:168 ; 4-byte Folded Spill
	;; [unrolled: 1-line block ×4, first 2 shown]
	s_load_dwordx2 s[2:3], s[4:5], 0x38
	s_waitcnt vmcnt(18)
	v_mul_f64 v[91:92], v[7:8], v[171:172]
	s_waitcnt vmcnt(17)
	v_mul_f64 v[95:96], v[13:14], v[167:168]
	;; [unrolled: 2-line block ×4, first 2 shown]
	v_mul_f64 v[77:78], v[19:20], v[159:160]
	s_waitcnt vmcnt(14)
	v_mul_f64 v[103:104], v[25:26], v[147:148]
	v_mul_f64 v[97:98], v[11:12], v[167:168]
	;; [unrolled: 1-line block ×4, first 2 shown]
	v_fma_f64 v[11:12], v[11:12], v[165:166], v[95:96]
	v_fma_f64 v[15:16], v[15:16], v[161:162], v[99:100]
	;; [unrolled: 1-line block ×4, first 2 shown]
	s_waitcnt vmcnt(10)
	v_mul_f64 v[83:84], v[33:34], v[109:110]
	v_mul_f64 v[79:80], v[29:30], v[113:114]
	;; [unrolled: 1-line block ×4, first 2 shown]
	s_waitcnt vmcnt(7)
	v_mul_f64 v[87:88], v[37:38], v[119:120]
	s_waitcnt vmcnt(3)
	v_mul_f64 v[75:76], v[45:46], v[155:156]
	v_add_co_ci_u32_e32 v68, vcc_lo, 0, v62, vcc_lo
	v_add_co_u32 v0, vcc_lo, v59, s16
	v_add_co_ci_u32_e32 v1, vcc_lo, s8, v60, vcc_lo
	s_clause 0x1
	global_load_dwordx4 v[137:140], v[63:64], off offset:1792
	global_load_dwordx4 v[133:136], v[67:68], off offset:128
	v_add_co_u32 v63, vcc_lo, v0, s12
	v_add_co_ci_u32_e32 v64, vcc_lo, s13, v1, vcc_lo
	global_load_dwordx4 v[59:62], v[0:1], off
	v_add_co_u32 v0, vcc_lo, v63, s12
	v_add_co_ci_u32_e32 v1, vcc_lo, s13, v64, vcc_lo
	global_load_dwordx4 v[125:128], v[67:68], off offset:896
	global_load_dwordx4 v[63:66], v[63:64], off
	global_load_dwordx4 v[129:132], v[67:68], off offset:1280
	buffer_store_dword v67, off, s[60:63], 0 offset:172 ; 4-byte Folded Spill
	buffer_store_dword v68, off, s[60:63], 0 offset:176 ; 4-byte Folded Spill
	v_fma_f64 v[27:28], v[27:28], v[111:112], v[79:80]
	v_fma_f64 v[31:32], v[31:32], v[107:108], v[83:84]
	s_waitcnt vmcnt(8)
	v_mul_f64 v[79:80], v[49:50], v[143:144]
	v_cmp_gt_u16_e32 vcc_lo, 7, v2
	global_load_dwordx4 v[121:124], v[67:68], off offset:1664
	global_load_dwordx4 v[67:70], v[0:1], off
	buffer_store_dword v72, off, s[60:63], 0 offset:188 ; 4-byte Folded Spill
	buffer_store_dword v73, off, s[60:63], 0 offset:192 ; 4-byte Folded Spill
	s_waitcnt vmcnt(7)
	v_mul_f64 v[83:84], v[53:54], v[139:140]
	v_sub_nc_u32_e32 v89, v73, v71
	v_mul_f64 v[71:72], v[5:6], v[175:176]
	v_mul_f64 v[73:74], v[3:4], v[175:176]
	s_waitcnt vmcnt(0)
	v_mul_f64 v[115:116], v[67:68], v[123:124]
	v_mul_u32_u24_e32 v94, 0x198, v89
	v_mul_f64 v[89:90], v[9:10], v[171:172]
	buffer_store_dword v94, off, s[60:63], 0 ; 4-byte Folded Spill
	v_lshlrev_b32_e32 v177, 4, v94
	v_mul_f64 v[93:94], v[35:36], v[119:120]
	v_fma_f64 v[35:36], v[35:36], v[117:118], v[87:88]
	v_mul_f64 v[87:88], v[57:58], v[135:136]
	v_fma_f64 v[3:4], v[3:4], v[173:174], v[71:72]
	buffer_store_dword v173, off, s[60:63], 0 offset:464 ; 4-byte Folded Spill
	buffer_store_dword v174, off, s[60:63], 0 offset:468 ; 4-byte Folded Spill
	;; [unrolled: 1-line block ×16, first 2 shown]
	v_fma_f64 v[7:8], v[7:8], v[169:170], v[89:90]
	buffer_store_dword v169, off, s[60:63], 0 offset:448 ; 4-byte Folded Spill
	buffer_store_dword v170, off, s[60:63], 0 offset:452 ; 4-byte Folded Spill
	;; [unrolled: 1-line block ×4, first 2 shown]
	v_mul_f64 v[71:72], v[41:42], v[151:152]
	v_mul_f64 v[109:110], v[65:66], v[131:132]
	;; [unrolled: 1-line block ×3, first 2 shown]
	buffer_store_dword v165, off, s[60:63], 0 offset:432 ; 4-byte Folded Spill
	buffer_store_dword v166, off, s[60:63], 0 offset:436 ; 4-byte Folded Spill
	;; [unrolled: 1-line block ×12, first 2 shown]
	v_mul_f64 v[89:90], v[55:56], v[135:136]
	v_fma_f64 v[55:56], v[55:56], v[133:134], v[87:88]
	v_fma_f64 v[67:68], v[67:68], v[121:122], v[113:114]
	v_fma_f64 v[5:6], v[5:6], v[173:174], -v[73:74]
	v_mul_f64 v[73:74], v[39:40], v[151:152]
	v_fma_f64 v[39:40], v[39:40], v[149:150], v[71:72]
	buffer_store_dword v149, off, s[60:63], 0 offset:368 ; 4-byte Folded Spill
	buffer_store_dword v150, off, s[60:63], 0 offset:372 ; 4-byte Folded Spill
	;; [unrolled: 1-line block ×4, first 2 shown]
	v_fma_f64 v[21:22], v[21:22], v[157:158], -v[77:78]
	v_fma_f64 v[9:10], v[9:10], v[169:170], -v[91:92]
	v_mul_f64 v[91:92], v[61:62], v[127:128]
	v_mul_f64 v[77:78], v[43:44], v[155:156]
	v_fma_f64 v[43:44], v[43:44], v[153:154], v[75:76]
	buffer_store_dword v153, off, s[60:63], 0 offset:384 ; 4-byte Folded Spill
	buffer_store_dword v154, off, s[60:63], 0 offset:388 ; 4-byte Folded Spill
	buffer_store_dword v155, off, s[60:63], 0 offset:392 ; 4-byte Folded Spill
	buffer_store_dword v156, off, s[60:63], 0 offset:396 ; 4-byte Folded Spill
	v_fma_f64 v[29:30], v[29:30], v[111:112], -v[81:82]
	v_mul_f64 v[81:82], v[47:48], v[143:144]
	v_fma_f64 v[47:48], v[47:48], v[141:142], v[79:80]
	buffer_store_dword v141, off, s[60:63], 0 offset:320 ; 4-byte Folded Spill
	buffer_store_dword v142, off, s[60:63], 0 offset:324 ; 4-byte Folded Spill
	buffer_store_dword v143, off, s[60:63], 0 offset:328 ; 4-byte Folded Spill
	buffer_store_dword v144, off, s[60:63], 0 offset:332 ; 4-byte Folded Spill
	v_fma_f64 v[33:34], v[33:34], v[107:108], -v[85:86]
	v_mul_f64 v[85:86], v[51:52], v[139:140]
	v_fma_f64 v[51:52], v[51:52], v[137:138], v[83:84]
	buffer_store_dword v137, off, s[60:63], 0 offset:304 ; 4-byte Folded Spill
	buffer_store_dword v138, off, s[60:63], 0 offset:308 ; 4-byte Folded Spill
	buffer_store_dword v139, off, s[60:63], 0 offset:312 ; 4-byte Folded Spill
	buffer_store_dword v140, off, s[60:63], 0 offset:316 ; 4-byte Folded Spill
	buffer_store_dword v133, off, s[60:63], 0 offset:288 ; 4-byte Folded Spill
	buffer_store_dword v134, off, s[60:63], 0 offset:292 ; 4-byte Folded Spill
	buffer_store_dword v135, off, s[60:63], 0 offset:296 ; 4-byte Folded Spill
	buffer_store_dword v136, off, s[60:63], 0 offset:300 ; 4-byte Folded Spill
	v_mul_f64 v[107:108], v[59:60], v[127:128]
	v_mul_f64 v[111:112], v[63:64], v[131:132]
	v_fma_f64 v[63:64], v[63:64], v[129:130], v[109:110]
	v_fma_f64 v[13:14], v[13:14], v[165:166], -v[97:98]
	v_fma_f64 v[17:18], v[17:18], v[161:162], -v[101:102]
	;; [unrolled: 1-line block ×3, first 2 shown]
	v_fma_f64 v[59:60], v[59:60], v[125:126], v[91:92]
	buffer_store_dword v125, off, s[60:63], 0 offset:240 ; 4-byte Folded Spill
	buffer_store_dword v126, off, s[60:63], 0 offset:244 ; 4-byte Folded Spill
	;; [unrolled: 1-line block ×16, first 2 shown]
	s_load_dwordx4 s[8:11], s[10:11], 0x0
	buffer_store_dword v178, off, s[60:63], 0 offset:488 ; 4-byte Folded Spill
	v_fma_f64 v[41:42], v[41:42], v[149:150], -v[73:74]
	v_fma_f64 v[45:46], v[45:46], v[153:154], -v[77:78]
	;; [unrolled: 1-line block ×9, first 2 shown]
	v_add_nc_u32_e32 v108, v178, v177
	ds_write_b128 v108, v[3:6]
	ds_write_b128 v108, v[19:22] offset:1536
	ds_write_b128 v108, v[27:30] offset:3072
	;; [unrolled: 1-line block ×16, first 2 shown]
	s_and_saveexec_b32 s14, vcc_lo
	s_cbranch_execz .LBB0_3
; %bb.2:
	s_clause 0x1
	buffer_load_dword v119, off, s[60:63], 0 offset:164
	buffer_load_dword v120, off, s[60:63], 0 offset:168
	v_mad_u64_u32 v[32:33], null, 0xffffea90, s0, v[0:1]
	s_mulk_i32 s1, 0xea90
	s_waitcnt vmcnt(0)
	s_clause 0x4
	global_load_dwordx4 v[0:3], v[119:120], off offset:272
	global_load_dwordx4 v[4:7], v[119:120], off offset:656
	;; [unrolled: 1-line block ×5, first 2 shown]
	s_clause 0x1
	buffer_load_dword v76, off, s[60:63], 0 offset:180
	buffer_load_dword v77, off, s[60:63], 0 offset:184
	s_sub_i32 s0, s1, s0
	v_add_nc_u32_e32 v33, s0, v33
	v_add_co_u32 v36, s0, v32, s12
	v_add_co_ci_u32_e64 v37, s0, s13, v33, s0
	v_add_co_u32 v40, s0, v36, s12
	v_add_co_ci_u32_e64 v41, s0, s13, v37, s0
	;; [unrolled: 2-line block ×17, first 2 shown]
	s_waitcnt vmcnt(0)
	s_clause 0x2
	global_load_dwordx4 v[20:23], v[76:77], off offset:144
	global_load_dwordx4 v[24:27], v[76:77], off offset:528
	;; [unrolled: 1-line block ×3, first 2 shown]
	global_load_dwordx4 v[32:35], v[32:33], off
	global_load_dwordx4 v[36:39], v[36:37], off
	;; [unrolled: 1-line block ×10, first 2 shown]
	s_clause 0x1
	global_load_dwordx4 v[72:75], v[76:77], off offset:1296
	global_load_dwordx4 v[76:79], v[76:77], off offset:1680
	global_load_dwordx4 v[80:83], v[80:81], off
	global_load_dwordx4 v[84:87], v[84:85], off
	s_clause 0x1
	buffer_load_dword v125, off, s[60:63], 0 offset:172
	buffer_load_dword v126, off, s[60:63], 0 offset:176
	s_waitcnt vmcnt(0)
	s_clause 0x1
	global_load_dwordx4 v[88:91], v[125:126], off offset:16
	global_load_dwordx4 v[92:95], v[125:126], off offset:400
	global_load_dwordx4 v[96:99], v[96:97], off
	global_load_dwordx4 v[100:103], v[100:101], off
	s_clause 0x1
	global_load_dwordx4 v[104:107], v[125:126], off offset:784
	global_load_dwordx4 v[109:112], v[125:126], off offset:1168
	global_load_dwordx4 v[113:116], v[117:118], off
	global_load_dwordx4 v[117:120], v[125:126], off offset:1552
	global_load_dwordx4 v[121:124], v[121:122], off
	s_clause 0x1
	global_load_dwordx4 v[125:128], v[125:126], off offset:1936
	global_load_dwordx4 v[129:132], v[129:130], off offset:272
	global_load_dwordx4 v[133:136], v[133:134], off
	v_mul_f64 v[137:138], v[34:35], v[2:3]
	v_mul_f64 v[2:3], v[32:33], v[2:3]
	;; [unrolled: 1-line block ×12, first 2 shown]
	v_fma_f64 v[32:33], v[32:33], v[0:1], v[137:138]
	v_fma_f64 v[34:35], v[34:35], v[0:1], -v[2:3]
	v_fma_f64 v[0:1], v[36:37], v[4:5], v[139:140]
	v_mul_f64 v[36:37], v[58:59], v[26:27]
	v_mul_f64 v[26:27], v[56:57], v[26:27]
	v_fma_f64 v[2:3], v[38:39], v[4:5], -v[6:7]
	v_mul_f64 v[38:39], v[62:63], v[30:31]
	v_mul_f64 v[30:31], v[60:61], v[30:31]
	v_fma_f64 v[4:5], v[40:41], v[8:9], v[141:142]
	v_fma_f64 v[6:7], v[42:43], v[8:9], -v[10:11]
	v_mul_f64 v[40:41], v[66:67], v[74:75]
	v_mul_f64 v[42:43], v[64:65], v[74:75]
	v_fma_f64 v[8:9], v[44:45], v[12:13], v[143:144]
	;; [unrolled: 4-line block ×3, first 2 shown]
	v_fma_f64 v[14:15], v[50:51], v[16:17], -v[18:19]
	v_fma_f64 v[16:17], v[52:53], v[20:21], v[147:148]
	v_fma_f64 v[18:19], v[54:55], v[20:21], -v[22:23]
	v_fma_f64 v[20:21], v[56:57], v[24:25], v[36:37]
	;; [unrolled: 2-line block ×5, first 2 shown]
	v_fma_f64 v[38:39], v[70:71], v[76:77], -v[46:47]
	s_waitcnt vmcnt(7)
	v_mul_f64 v[74:75], v[98:99], v[106:107]
	v_mul_f64 v[48:49], v[82:83], v[90:91]
	;; [unrolled: 1-line block ×6, first 2 shown]
	s_waitcnt vmcnt(6)
	v_mul_f64 v[90:91], v[102:103], v[111:112]
	v_mul_f64 v[94:95], v[100:101], v[111:112]
	s_waitcnt vmcnt(4)
	v_mul_f64 v[106:107], v[115:116], v[119:120]
	v_mul_f64 v[111:112], v[113:114], v[119:120]
	;; [unrolled: 3-line block ×4, first 2 shown]
	v_fma_f64 v[40:41], v[80:81], v[88:89], v[48:49]
	v_fma_f64 v[42:43], v[82:83], v[88:89], -v[50:51]
	v_fma_f64 v[44:45], v[84:85], v[92:93], v[52:53]
	v_fma_f64 v[46:47], v[86:87], v[92:93], -v[54:55]
	;; [unrolled: 2-line block ×7, first 2 shown]
	ds_write_b128 v108, v[32:35] offset:272
	ds_write_b128 v108, v[0:3] offset:656
	;; [unrolled: 1-line block ×17, first 2 shown]
.LBB0_3:
	s_or_b32 exec_lo, exec_lo, s14
	buffer_store_dword v177, off, s[60:63], 0 offset:480 ; 4-byte Folded Spill
	s_waitcnt lgkmcnt(0)
	s_waitcnt_vscnt null, 0x0
	s_barrier
	buffer_gl0_inv
	ds_read_b128 v[52:55], v108
	ds_read_b128 v[60:63], v108 offset:384
	ds_read_b128 v[48:51], v108 offset:768
	;; [unrolled: 1-line block ×16, first 2 shown]
	s_load_dwordx2 s[0:1], s[4:5], 0x8
                                        ; implicit-def: $vgpr132_vgpr133
                                        ; implicit-def: $vgpr136_vgpr137
                                        ; implicit-def: $vgpr148_vgpr149
                                        ; implicit-def: $vgpr152_vgpr153
                                        ; implicit-def: $vgpr164_vgpr165
                                        ; implicit-def: $vgpr168_vgpr169
                                        ; implicit-def: $vgpr172_vgpr173
                                        ; implicit-def: $vgpr160_vgpr161
                                        ; implicit-def: $vgpr128_vgpr129
                                        ; implicit-def: $vgpr124_vgpr125
                                        ; implicit-def: $vgpr120_vgpr121
                                        ; implicit-def: $vgpr112_vgpr113
                                        ; implicit-def: $vgpr80_vgpr81
                                        ; implicit-def: $vgpr156_vgpr157
                                        ; implicit-def: $vgpr144_vgpr145
                                        ; implicit-def: $vgpr140_vgpr141
                                        ; implicit-def: $vgpr116_vgpr117
	s_and_saveexec_b32 s4, vcc_lo
	s_cbranch_execz .LBB0_5
; %bb.4:
	ds_read_b128 v[116:119], v108 offset:272
	ds_read_b128 v[132:135], v108 offset:656
	;; [unrolled: 1-line block ×17, first 2 shown]
.LBB0_5:
	s_or_b32 exec_lo, exec_lo, s4
	v_add_co_u32 v68, null, v214, 17
	s_waitcnt lgkmcnt(0)
	v_add_f64 v[70:71], v[54:55], v[62:63]
	s_mov_b32 s44, 0x5d8e7cdc
	s_mov_b32 s48, 0x2a9d6da3
	buffer_store_dword v68, off, s[60:63], 0 offset:496 ; 4-byte Folded Spill
	v_add_f64 v[68:69], v[52:53], v[60:61]
	s_mov_b32 s54, 0x7c9e640b
	s_mov_b32 s46, 0xeb564b22
	;; [unrolled: 1-line block ×17, first 2 shown]
	v_add_f64 v[70:71], v[70:71], v[50:51]
	s_mov_b32 s20, 0x3259b75e
	s_mov_b32 s22, 0xc61f0d01
	;; [unrolled: 1-line block ×3, first 2 shown]
	v_add_f64 v[68:69], v[68:69], v[48:49]
	s_mov_b32 s18, 0x910ea3b9
	s_mov_b32 s14, 0x7faef3
	;; [unrolled: 1-line block ×17, first 2 shown]
	v_add_f64 v[70:71], v[70:71], v[42:43]
	s_mov_b32 s40, s44
	s_mov_b32 s59, 0x3fc7851a
	;; [unrolled: 1-line block ×3, first 2 shown]
	v_add_f64 v[68:69], v[68:69], v[40:41]
	s_mov_b32 s39, 0x3fe58eea
	s_mov_b32 s38, s48
	;; [unrolled: 1-line block ×6, first 2 shown]
	v_add_f64 v[228:229], v[136:137], v[124:125]
	v_add_f64 v[232:233], v[138:139], v[126:127]
	v_add_f64 v[240:241], v[154:155], -v[174:175]
	v_add_f64 v[224:225], v[152:153], v[172:173]
	v_add_f64 v[226:227], v[154:155], v[174:175]
	v_add_f64 v[242:243], v[166:167], v[170:171]
	v_mov_b32_e32 v111, v214
	v_add_f64 v[70:71], v[70:71], v[34:35]
	v_add_f64 v[68:69], v[68:69], v[32:33]
	v_mul_f64 v[244:245], v[240:241], s[36:37]
	v_mul_f64 v[248:249], v[240:241], s[30:31]
	v_mul_f64 v[252:253], v[240:241], s[46:47]
	v_add_f64 v[70:71], v[70:71], v[26:27]
	v_add_f64 v[68:69], v[68:69], v[24:25]
	;; [unrolled: 1-line block ×24, first 2 shown]
	buffer_store_dword v68, off, s[60:63], 0 offset:500 ; 4-byte Folded Spill
	buffer_store_dword v69, off, s[60:63], 0 offset:504 ; 4-byte Folded Spill
	;; [unrolled: 1-line block ×4, first 2 shown]
	v_add_f64 v[70:71], v[62:63], v[66:67]
	v_add_f64 v[62:63], v[62:63], -v[66:67]
	v_add_f64 v[68:69], v[60:61], v[64:65]
	v_add_f64 v[60:61], v[60:61], -v[64:65]
	v_mul_f64 v[64:65], v[62:63], s[44:45]
	v_mul_f64 v[76:77], v[62:63], s[48:49]
	;; [unrolled: 1-line block ×16, first 2 shown]
	v_fma_f64 v[66:67], v[68:69], s[4:5], -v[64:65]
	v_fma_f64 v[64:65], v[68:69], s[4:5], v[64:65]
	v_fma_f64 v[78:79], v[68:69], s[12:13], -v[76:77]
	v_fma_f64 v[76:77], v[68:69], s[12:13], v[76:77]
	;; [unrolled: 2-line block ×8, first 2 shown]
	v_fma_f64 v[74:75], v[70:71], s[4:5], v[72:73]
	v_fma_f64 v[72:73], v[70:71], s[4:5], -v[72:73]
	v_fma_f64 v[86:87], v[70:71], s[12:13], v[84:85]
	v_fma_f64 v[84:85], v[70:71], s[12:13], -v[84:85]
	;; [unrolled: 2-line block ×3, first 2 shown]
	v_add_f64 v[66:67], v[52:53], v[66:67]
	v_add_f64 v[64:65], v[52:53], v[64:65]
	;; [unrolled: 1-line block ×7, first 2 shown]
	v_fma_f64 v[102:103], v[70:71], s[20:21], v[100:101]
	v_add_f64 v[96:97], v[52:53], v[96:97]
	v_fma_f64 v[100:101], v[70:71], s[20:21], -v[100:101]
	v_add_f64 v[106:107], v[52:53], v[106:107]
	v_fma_f64 v[176:177], v[70:71], s[22:23], v[109:110]
	v_add_f64 v[104:105], v[52:53], v[104:105]
	v_fma_f64 v[109:110], v[70:71], s[22:23], -v[109:110]
	v_add_f64 v[180:181], v[52:53], v[180:181]
	v_fma_f64 v[184:185], v[70:71], s[24:25], v[182:183]
	v_add_f64 v[178:179], v[52:53], v[178:179]
	v_fma_f64 v[182:183], v[70:71], s[24:25], -v[182:183]
	v_add_f64 v[188:189], v[52:53], v[188:189]
	v_fma_f64 v[192:193], v[70:71], s[18:19], v[190:191]
	v_add_f64 v[186:187], v[52:53], v[186:187]
	v_fma_f64 v[190:191], v[70:71], s[18:19], -v[190:191]
	v_add_f64 v[194:195], v[52:53], v[194:195]
	v_fma_f64 v[196:197], v[70:71], s[14:15], v[60:61]
	v_add_f64 v[52:53], v[52:53], v[62:63]
	v_fma_f64 v[60:61], v[70:71], s[14:15], -v[60:61]
	v_add_f64 v[62:63], v[50:51], v[58:59]
	v_add_f64 v[50:51], v[50:51], -v[58:59]
	v_add_f64 v[74:75], v[54:55], v[74:75]
	v_add_f64 v[72:73], v[54:55], v[72:73]
	;; [unrolled: 1-line block ×17, first 2 shown]
	v_add_f64 v[48:49], v[48:49], -v[56:57]
	v_mul_f64 v[56:57], v[50:51], s[48:49]
	v_fma_f64 v[58:59], v[60:61], s[12:13], -v[56:57]
	v_fma_f64 v[56:57], v[60:61], s[12:13], v[56:57]
	v_add_f64 v[58:59], v[58:59], v[66:67]
	v_mul_f64 v[66:67], v[48:49], s[48:49]
	v_add_f64 v[56:57], v[56:57], v[64:65]
	v_fma_f64 v[68:69], v[62:63], s[12:13], v[66:67]
	v_fma_f64 v[64:65], v[62:63], s[12:13], -v[66:67]
	v_mul_f64 v[66:67], v[50:51], s[46:47]
	v_add_f64 v[68:69], v[68:69], v[74:75]
	v_add_f64 v[64:65], v[64:65], v[72:73]
	v_fma_f64 v[70:71], v[60:61], s[20:21], -v[66:67]
	v_mul_f64 v[72:73], v[48:49], s[46:47]
	v_fma_f64 v[66:67], v[60:61], s[20:21], v[66:67]
	v_add_f64 v[70:71], v[70:71], v[78:79]
	v_fma_f64 v[74:75], v[62:63], s[20:21], v[72:73]
	v_add_f64 v[66:67], v[66:67], v[76:77]
	v_fma_f64 v[72:73], v[62:63], s[20:21], -v[72:73]
	v_mul_f64 v[76:77], v[50:51], s[34:35]
	v_add_f64 v[74:75], v[74:75], v[86:87]
	v_add_f64 v[72:73], v[72:73], v[84:85]
	v_fma_f64 v[78:79], v[60:61], s[24:25], -v[76:77]
	v_mul_f64 v[84:85], v[48:49], s[34:35]
	v_fma_f64 v[76:77], v[60:61], s[24:25], v[76:77]
	v_add_f64 v[78:79], v[78:79], v[90:91]
	v_fma_f64 v[86:87], v[62:63], s[24:25], v[84:85]
	v_add_f64 v[76:77], v[76:77], v[88:89]
	;; [unrolled: 10-line block ×5, first 2 shown]
	v_fma_f64 v[109:110], v[62:63], s[22:23], -v[109:110]
	v_mul_f64 v[178:179], v[50:51], s[30:31]
	v_mul_f64 v[50:51], v[50:51], s[40:41]
	v_add_f64 v[176:177], v[176:177], v[184:185]
	v_add_f64 v[109:110], v[109:110], v[182:183]
	v_fma_f64 v[180:181], v[60:61], s[16:17], -v[178:179]
	v_mul_f64 v[182:183], v[48:49], s[30:31]
	v_mul_f64 v[48:49], v[48:49], s[40:41]
	v_fma_f64 v[178:179], v[60:61], s[16:17], v[178:179]
	v_add_f64 v[180:181], v[180:181], v[188:189]
	v_fma_f64 v[184:185], v[62:63], s[16:17], v[182:183]
	v_fma_f64 v[188:189], v[62:63], s[4:5], v[48:49]
	v_fma_f64 v[48:49], v[62:63], s[4:5], -v[48:49]
	v_add_f64 v[178:179], v[178:179], v[186:187]
	v_fma_f64 v[186:187], v[60:61], s[4:5], -v[50:51]
	v_fma_f64 v[50:51], v[60:61], s[4:5], v[50:51]
	v_fma_f64 v[182:183], v[62:63], s[16:17], -v[182:183]
	v_add_f64 v[184:185], v[184:185], v[192:193]
	v_add_f64 v[188:189], v[188:189], v[196:197]
	;; [unrolled: 1-line block ×4, first 2 shown]
	v_add_f64 v[42:43], v[42:43], -v[46:47]
	v_add_f64 v[50:51], v[50:51], v[52:53]
	v_add_f64 v[52:53], v[40:41], v[44:45]
	v_add_f64 v[40:41], v[40:41], -v[44:45]
	v_add_f64 v[186:187], v[186:187], v[194:195]
	v_add_f64 v[182:183], v[182:183], v[190:191]
	v_mul_f64 v[44:45], v[42:43], s[54:55]
	v_fma_f64 v[46:47], v[52:53], s[16:17], -v[44:45]
	v_fma_f64 v[44:45], v[52:53], s[16:17], v[44:45]
	v_add_f64 v[46:47], v[46:47], v[58:59]
	v_mul_f64 v[58:59], v[40:41], s[54:55]
	v_add_f64 v[44:45], v[44:45], v[56:57]
	v_fma_f64 v[60:61], v[54:55], s[16:17], v[58:59]
	v_fma_f64 v[56:57], v[54:55], s[16:17], -v[58:59]
	v_mul_f64 v[58:59], v[42:43], s[34:35]
	v_add_f64 v[60:61], v[60:61], v[68:69]
	v_add_f64 v[56:57], v[56:57], v[64:65]
	v_fma_f64 v[62:63], v[52:53], s[24:25], -v[58:59]
	v_fma_f64 v[58:59], v[52:53], s[24:25], v[58:59]
	v_mul_f64 v[64:65], v[40:41], s[34:35]
	v_add_f64 v[62:63], v[62:63], v[70:71]
	v_add_f64 v[58:59], v[58:59], v[66:67]
	v_mul_f64 v[66:67], v[42:43], s[58:59]
	v_fma_f64 v[68:69], v[54:55], s[24:25], v[64:65]
	v_fma_f64 v[64:65], v[54:55], s[24:25], -v[64:65]
	v_fma_f64 v[70:71], v[52:53], s[14:15], -v[66:67]
	v_fma_f64 v[66:67], v[52:53], s[14:15], v[66:67]
	v_add_f64 v[64:65], v[64:65], v[72:73]
	v_mul_f64 v[72:73], v[40:41], s[58:59]
	v_add_f64 v[68:69], v[68:69], v[74:75]
	v_add_f64 v[70:71], v[70:71], v[78:79]
	v_add_f64 v[66:67], v[66:67], v[76:77]
	v_mul_f64 v[76:77], v[42:43], s[52:53]
	v_fma_f64 v[74:75], v[54:55], s[14:15], v[72:73]
	v_fma_f64 v[72:73], v[54:55], s[14:15], -v[72:73]
	v_fma_f64 v[78:79], v[52:53], s[22:23], -v[76:77]
	v_fma_f64 v[76:77], v[52:53], s[22:23], v[76:77]
	v_add_f64 v[72:73], v[72:73], v[84:85]
	v_mul_f64 v[84:85], v[40:41], s[52:53]
	v_add_f64 v[74:75], v[74:75], v[86:87]
	;; [unrolled: 10-line block ×4, first 2 shown]
	v_add_f64 v[98:99], v[98:99], v[106:107]
	v_add_f64 v[96:97], v[96:97], v[104:105]
	v_mul_f64 v[104:105], v[42:43], s[46:47]
	v_fma_f64 v[102:103], v[54:55], s[4:5], v[100:101]
	v_fma_f64 v[100:101], v[54:55], s[4:5], -v[100:101]
	v_mul_f64 v[42:43], v[42:43], s[36:37]
	v_fma_f64 v[106:107], v[52:53], s[20:21], -v[104:105]
	v_fma_f64 v[104:105], v[52:53], s[20:21], v[104:105]
	v_add_f64 v[100:101], v[100:101], v[109:110]
	v_mul_f64 v[109:110], v[40:41], s[46:47]
	v_mul_f64 v[40:41], v[40:41], s[36:37]
	v_add_f64 v[102:103], v[102:103], v[176:177]
	v_add_f64 v[106:107], v[106:107], v[180:181]
	;; [unrolled: 1-line block ×3, first 2 shown]
	v_fma_f64 v[178:179], v[52:53], s[18:19], -v[42:43]
	v_fma_f64 v[42:43], v[52:53], s[18:19], v[42:43]
	v_fma_f64 v[180:181], v[54:55], s[18:19], v[40:41]
	v_fma_f64 v[40:41], v[54:55], s[18:19], -v[40:41]
	v_fma_f64 v[176:177], v[54:55], s[20:21], v[109:110]
	v_fma_f64 v[109:110], v[54:55], s[20:21], -v[109:110]
	v_add_f64 v[178:179], v[178:179], v[186:187]
	v_add_f64 v[42:43], v[42:43], v[50:51]
	;; [unrolled: 1-line block ×3, first 2 shown]
	v_add_f64 v[34:35], v[34:35], -v[38:39]
	v_add_f64 v[40:41], v[40:41], v[48:49]
	v_add_f64 v[48:49], v[32:33], v[36:37]
	v_add_f64 v[32:33], v[32:33], -v[36:37]
	v_add_f64 v[176:177], v[176:177], v[184:185]
	v_add_f64 v[180:181], v[180:181], v[188:189]
	;; [unrolled: 1-line block ×3, first 2 shown]
	v_mul_f64 v[36:37], v[34:35], s[46:47]
	v_fma_f64 v[38:39], v[48:49], s[20:21], -v[36:37]
	v_fma_f64 v[36:37], v[48:49], s[20:21], v[36:37]
	v_add_f64 v[38:39], v[38:39], v[46:47]
	v_mul_f64 v[46:47], v[32:33], s[46:47]
	v_add_f64 v[36:37], v[36:37], v[44:45]
	v_fma_f64 v[52:53], v[50:51], s[20:21], v[46:47]
	v_fma_f64 v[44:45], v[50:51], s[20:21], -v[46:47]
	v_mul_f64 v[46:47], v[34:35], s[42:43]
	v_add_f64 v[52:53], v[52:53], v[60:61]
	v_add_f64 v[44:45], v[44:45], v[56:57]
	v_fma_f64 v[54:55], v[48:49], s[14:15], -v[46:47]
	v_fma_f64 v[46:47], v[48:49], s[14:15], v[46:47]
	v_mul_f64 v[56:57], v[32:33], s[42:43]
	v_add_f64 v[54:55], v[54:55], v[62:63]
	v_add_f64 v[46:47], v[46:47], v[58:59]
	v_mul_f64 v[58:59], v[34:35], s[52:53]
	v_fma_f64 v[60:61], v[50:51], s[14:15], v[56:57]
	v_fma_f64 v[56:57], v[50:51], s[14:15], -v[56:57]
	v_fma_f64 v[62:63], v[48:49], s[22:23], -v[58:59]
	v_fma_f64 v[58:59], v[48:49], s[22:23], v[58:59]
	v_add_f64 v[56:57], v[56:57], v[64:65]
	v_mul_f64 v[64:65], v[32:33], s[52:53]
	v_add_f64 v[60:61], v[60:61], v[68:69]
	v_add_f64 v[62:63], v[62:63], v[70:71]
	v_add_f64 v[58:59], v[58:59], v[66:67]
	v_mul_f64 v[66:67], v[34:35], s[40:41]
	v_fma_f64 v[68:69], v[50:51], s[22:23], v[64:65]
	v_fma_f64 v[64:65], v[50:51], s[22:23], -v[64:65]
	v_fma_f64 v[70:71], v[48:49], s[4:5], -v[66:67]
	v_fma_f64 v[66:67], v[48:49], s[4:5], v[66:67]
	v_add_f64 v[64:65], v[64:65], v[72:73]
	v_mul_f64 v[72:73], v[32:33], s[40:41]
	v_add_f64 v[68:69], v[68:69], v[74:75]
	;; [unrolled: 10-line block ×4, first 2 shown]
	v_add_f64 v[90:91], v[90:91], v[98:99]
	v_add_f64 v[88:89], v[88:89], v[96:97]
	v_mul_f64 v[96:97], v[34:35], s[50:51]
	v_fma_f64 v[94:95], v[50:51], s[18:19], v[92:93]
	v_fma_f64 v[92:93], v[50:51], s[18:19], -v[92:93]
	v_mul_f64 v[34:35], v[34:35], s[38:39]
	v_fma_f64 v[98:99], v[48:49], s[24:25], -v[96:97]
	v_fma_f64 v[96:97], v[48:49], s[24:25], v[96:97]
	v_add_f64 v[92:93], v[92:93], v[100:101]
	v_mul_f64 v[100:101], v[32:33], s[50:51]
	v_mul_f64 v[32:33], v[32:33], s[38:39]
	v_add_f64 v[94:95], v[94:95], v[102:103]
	v_add_f64 v[98:99], v[98:99], v[106:107]
	;; [unrolled: 1-line block ×3, first 2 shown]
	v_fma_f64 v[104:105], v[48:49], s[12:13], -v[34:35]
	v_fma_f64 v[34:35], v[48:49], s[12:13], v[34:35]
	v_fma_f64 v[106:107], v[50:51], s[12:13], v[32:33]
	v_fma_f64 v[32:33], v[50:51], s[12:13], -v[32:33]
	v_fma_f64 v[102:103], v[50:51], s[24:25], v[100:101]
	v_fma_f64 v[100:101], v[50:51], s[24:25], -v[100:101]
	v_add_f64 v[104:105], v[104:105], v[178:179]
	v_add_f64 v[34:35], v[34:35], v[42:43]
	;; [unrolled: 1-line block ×3, first 2 shown]
	v_add_f64 v[26:27], v[26:27], -v[30:31]
	v_add_f64 v[32:33], v[32:33], v[40:41]
	v_add_f64 v[40:41], v[24:25], v[28:29]
	v_add_f64 v[24:25], v[24:25], -v[28:29]
	v_add_f64 v[102:103], v[102:103], v[176:177]
	v_add_f64 v[106:107], v[106:107], v[180:181]
	;; [unrolled: 1-line block ×5, first 2 shown]
	v_mul_f64 v[28:29], v[26:27], s[26:27]
	v_mul_f64 v[50:51], v[24:25], s[56:57]
	v_fma_f64 v[30:31], v[40:41], s[22:23], -v[28:29]
	v_fma_f64 v[28:29], v[40:41], s[22:23], v[28:29]
	v_add_f64 v[30:31], v[30:31], v[38:39]
	v_mul_f64 v[38:39], v[24:25], s[26:27]
	v_add_f64 v[28:29], v[28:29], v[36:37]
	v_fma_f64 v[48:49], v[42:43], s[22:23], v[38:39]
	v_fma_f64 v[36:37], v[42:43], s[22:23], -v[38:39]
	v_mul_f64 v[38:39], v[26:27], s[56:57]
	v_add_f64 v[48:49], v[48:49], v[52:53]
	v_add_f64 v[36:37], v[36:37], v[44:45]
	v_fma_f64 v[44:45], v[40:41], s[18:19], -v[38:39]
	v_fma_f64 v[38:39], v[40:41], s[18:19], v[38:39]
	v_fma_f64 v[52:53], v[42:43], s[18:19], v[50:51]
	v_add_f64 v[44:45], v[44:45], v[54:55]
	v_add_f64 v[38:39], v[38:39], v[46:47]
	v_fma_f64 v[46:47], v[42:43], s[18:19], -v[50:51]
	v_mul_f64 v[50:51], v[26:27], s[38:39]
	v_add_f64 v[52:53], v[52:53], v[60:61]
	v_add_f64 v[46:47], v[46:47], v[56:57]
	v_fma_f64 v[54:55], v[40:41], s[12:13], -v[50:51]
	v_fma_f64 v[50:51], v[40:41], s[12:13], v[50:51]
	v_mul_f64 v[56:57], v[24:25], s[38:39]
	v_add_f64 v[54:55], v[54:55], v[62:63]
	v_add_f64 v[50:51], v[50:51], v[58:59]
	v_mul_f64 v[58:59], v[26:27], s[54:55]
	v_fma_f64 v[60:61], v[42:43], s[12:13], v[56:57]
	v_fma_f64 v[56:57], v[42:43], s[12:13], -v[56:57]
	v_fma_f64 v[62:63], v[40:41], s[16:17], -v[58:59]
	v_fma_f64 v[58:59], v[40:41], s[16:17], v[58:59]
	v_add_f64 v[56:57], v[56:57], v[64:65]
	v_mul_f64 v[64:65], v[24:25], s[54:55]
	v_add_f64 v[60:61], v[60:61], v[68:69]
	v_add_f64 v[62:63], v[62:63], v[70:71]
	v_add_f64 v[58:59], v[58:59], v[66:67]
	v_mul_f64 v[66:67], v[26:27], s[42:43]
	v_fma_f64 v[68:69], v[42:43], s[16:17], v[64:65]
	v_fma_f64 v[64:65], v[42:43], s[16:17], -v[64:65]
	v_fma_f64 v[70:71], v[40:41], s[14:15], -v[66:67]
	v_fma_f64 v[66:67], v[40:41], s[14:15], v[66:67]
	v_add_f64 v[64:65], v[64:65], v[72:73]
	v_mul_f64 v[72:73], v[24:25], s[42:43]
	v_add_f64 v[68:69], v[68:69], v[74:75]
	;; [unrolled: 10-line block ×3, first 2 shown]
	v_add_f64 v[78:79], v[78:79], v[90:91]
	v_add_f64 v[76:77], v[76:77], v[88:89]
	v_mul_f64 v[88:89], v[26:27], s[44:45]
	v_fma_f64 v[86:87], v[42:43], s[20:21], v[84:85]
	v_fma_f64 v[84:85], v[42:43], s[20:21], -v[84:85]
	v_mul_f64 v[26:27], v[26:27], s[34:35]
	v_fma_f64 v[90:91], v[40:41], s[4:5], -v[88:89]
	v_fma_f64 v[88:89], v[40:41], s[4:5], v[88:89]
	v_add_f64 v[84:85], v[84:85], v[92:93]
	v_mul_f64 v[92:93], v[24:25], s[44:45]
	v_mul_f64 v[24:25], v[24:25], s[34:35]
	v_add_f64 v[86:87], v[86:87], v[94:95]
	v_add_f64 v[90:91], v[90:91], v[98:99]
	v_add_f64 v[88:89], v[88:89], v[96:97]
	v_fma_f64 v[96:97], v[40:41], s[24:25], -v[26:27]
	v_fma_f64 v[26:27], v[40:41], s[24:25], v[26:27]
	v_fma_f64 v[98:99], v[42:43], s[24:25], v[24:25]
	v_fma_f64 v[24:25], v[42:43], s[24:25], -v[24:25]
	v_fma_f64 v[94:95], v[42:43], s[4:5], v[92:93]
	v_fma_f64 v[92:93], v[42:43], s[4:5], -v[92:93]
	v_add_f64 v[96:97], v[96:97], v[104:105]
	v_add_f64 v[26:27], v[26:27], v[34:35]
	v_add_f64 v[34:35], v[18:19], v[22:23]
	v_add_f64 v[18:19], v[18:19], -v[22:23]
	v_add_f64 v[24:25], v[24:25], v[32:33]
	v_add_f64 v[32:33], v[16:17], v[20:21]
	v_add_f64 v[16:17], v[16:17], -v[20:21]
	v_add_f64 v[94:95], v[94:95], v[102:103]
	v_add_f64 v[98:99], v[98:99], v[106:107]
	;; [unrolled: 1-line block ×3, first 2 shown]
	v_mul_f64 v[20:21], v[18:19], s[34:35]
	v_mul_f64 v[42:43], v[16:17], s[52:53]
	v_fma_f64 v[22:23], v[32:33], s[24:25], -v[20:21]
	v_fma_f64 v[20:21], v[32:33], s[24:25], v[20:21]
	v_add_f64 v[22:23], v[22:23], v[30:31]
	v_mul_f64 v[30:31], v[16:17], s[34:35]
	v_add_f64 v[20:21], v[20:21], v[28:29]
	v_fma_f64 v[40:41], v[34:35], s[24:25], v[30:31]
	v_fma_f64 v[28:29], v[34:35], s[24:25], -v[30:31]
	v_mul_f64 v[30:31], v[18:19], s[52:53]
	v_add_f64 v[40:41], v[40:41], v[48:49]
	v_add_f64 v[28:29], v[28:29], v[36:37]
	v_fma_f64 v[36:37], v[32:33], s[22:23], -v[30:31]
	v_fma_f64 v[30:31], v[32:33], s[22:23], v[30:31]
	v_mul_f64 v[48:49], v[16:17], s[44:45]
	v_add_f64 v[36:37], v[36:37], v[44:45]
	v_fma_f64 v[44:45], v[34:35], s[22:23], v[42:43]
	v_add_f64 v[30:31], v[30:31], v[38:39]
	v_fma_f64 v[38:39], v[34:35], s[22:23], -v[42:43]
	v_mul_f64 v[42:43], v[18:19], s[44:45]
	v_add_f64 v[44:45], v[44:45], v[52:53]
	v_fma_f64 v[52:53], v[34:35], s[4:5], v[48:49]
	v_fma_f64 v[48:49], v[34:35], s[4:5], -v[48:49]
	v_add_f64 v[38:39], v[38:39], v[46:47]
	v_fma_f64 v[46:47], v[32:33], s[4:5], -v[42:43]
	v_fma_f64 v[42:43], v[32:33], s[4:5], v[42:43]
	v_add_f64 v[52:53], v[52:53], v[60:61]
	v_add_f64 v[48:49], v[48:49], v[56:57]
	v_mul_f64 v[56:57], v[16:17], s[36:37]
	v_add_f64 v[46:47], v[46:47], v[54:55]
	v_add_f64 v[42:43], v[42:43], v[50:51]
	v_mul_f64 v[50:51], v[18:19], s[36:37]
	v_fma_f64 v[60:61], v[34:35], s[18:19], v[56:57]
	v_fma_f64 v[56:57], v[34:35], s[18:19], -v[56:57]
	v_fma_f64 v[54:55], v[32:33], s[18:19], -v[50:51]
	v_fma_f64 v[50:51], v[32:33], s[18:19], v[50:51]
	v_add_f64 v[100:101], v[60:61], v[68:69]
	v_add_f64 v[102:103], v[56:57], v[64:65]
	v_mul_f64 v[56:57], v[18:19], s[28:29]
	v_add_f64 v[54:55], v[54:55], v[62:63]
	v_add_f64 v[50:51], v[50:51], v[58:59]
	v_fma_f64 v[58:59], v[32:33], s[20:21], -v[56:57]
	v_fma_f64 v[56:57], v[32:33], s[20:21], v[56:57]
	v_add_f64 v[104:105], v[58:59], v[70:71]
	v_mul_f64 v[58:59], v[16:17], s[28:29]
	v_add_f64 v[106:107], v[56:57], v[66:67]
	v_fma_f64 v[56:57], v[34:35], s[20:21], -v[58:59]
	v_fma_f64 v[60:61], v[34:35], s[20:21], v[58:59]
	v_add_f64 v[72:73], v[56:57], v[72:73]
	v_mul_f64 v[56:57], v[18:19], s[48:49]
	;; [unrolled: 5-line block ×4, first 2 shown]
	v_mul_f64 v[18:19], v[18:19], s[30:31]
	v_add_f64 v[86:87], v[60:61], v[86:87]
	v_fma_f64 v[58:59], v[32:33], s[14:15], -v[56:57]
	v_fma_f64 v[56:57], v[32:33], s[14:15], v[56:57]
	v_add_f64 v[90:91], v[58:59], v[90:91]
	v_mul_f64 v[58:59], v[16:17], s[42:43]
	v_add_f64 v[88:89], v[56:57], v[88:89]
	v_mul_f64 v[16:17], v[16:17], s[30:31]
	v_fma_f64 v[56:57], v[34:35], s[14:15], -v[58:59]
	v_fma_f64 v[60:61], v[34:35], s[14:15], v[58:59]
	v_add_f64 v[92:93], v[56:57], v[92:93]
	v_fma_f64 v[56:57], v[32:33], s[16:17], -v[18:19]
	v_fma_f64 v[18:19], v[32:33], s[16:17], v[18:19]
	v_add_f64 v[94:95], v[60:61], v[94:95]
	v_add_f64 v[96:97], v[56:57], v[96:97]
	v_fma_f64 v[56:57], v[34:35], s[16:17], v[16:17]
	v_add_f64 v[109:110], v[18:19], v[26:27]
	v_fma_f64 v[16:17], v[34:35], s[16:17], -v[16:17]
	v_add_f64 v[26:27], v[10:11], -v[14:15]
	v_add_f64 v[98:99], v[56:57], v[98:99]
	v_add_f64 v[176:177], v[16:17], v[24:25]
	v_mul_f64 v[16:17], v[26:27], s[46:47]
	v_add_f64 v[24:25], v[8:9], -v[12:13]
	v_mul_f64 v[8:9], v[26:27], s[36:37]
	v_fma_f64 v[18:19], v[178:179], s[20:21], -v[16:17]
	v_fma_f64 v[16:17], v[178:179], s[20:21], v[16:17]
	v_fma_f64 v[10:11], v[178:179], s[18:19], -v[8:9]
	v_fma_f64 v[8:9], v[178:179], s[18:19], v[8:9]
	v_add_f64 v[60:61], v[18:19], v[46:47]
	v_mul_f64 v[18:19], v[24:25], s[46:47]
	v_add_f64 v[68:69], v[10:11], v[22:23]
	v_add_f64 v[66:67], v[8:9], v[20:21]
	v_mul_f64 v[10:11], v[24:25], s[36:37]
	v_add_f64 v[16:17], v[16:17], v[42:43]
	v_fma_f64 v[20:21], v[180:181], s[20:21], v[18:19]
	v_fma_f64 v[18:19], v[180:181], s[20:21], -v[18:19]
	v_fma_f64 v[8:9], v[180:181], s[18:19], -v[10:11]
	v_fma_f64 v[12:13], v[180:181], s[18:19], v[10:11]
	v_add_f64 v[62:63], v[20:21], v[52:53]
	v_mul_f64 v[20:21], v[26:27], s[50:51]
	v_add_f64 v[18:19], v[18:19], v[48:49]
	v_add_f64 v[64:65], v[8:9], v[28:29]
	v_mul_f64 v[8:9], v[26:27], s[30:31]
	v_add_f64 v[70:71], v[12:13], v[40:41]
	v_fma_f64 v[22:23], v[178:179], s[24:25], -v[20:21]
	v_fma_f64 v[20:21], v[178:179], s[24:25], v[20:21]
	v_fma_f64 v[10:11], v[178:179], s[16:17], -v[8:9]
	v_fma_f64 v[8:9], v[178:179], s[16:17], v[8:9]
	v_add_f64 v[56:57], v[22:23], v[54:55]
	v_mul_f64 v[22:23], v[24:25], s[50:51]
	v_add_f64 v[54:55], v[20:21], v[50:51]
	v_add_f64 v[12:13], v[10:11], v[36:37]
	v_mul_f64 v[10:11], v[24:25], s[30:31]
	v_add_f64 v[8:9], v[8:9], v[30:31]
	v_fma_f64 v[20:21], v[180:181], s[24:25], -v[22:23]
	v_fma_f64 v[28:29], v[180:181], s[24:25], v[22:23]
	v_fma_f64 v[14:15], v[180:181], s[16:17], v[10:11]
	v_fma_f64 v[10:11], v[180:181], s[16:17], -v[10:11]
	v_add_f64 v[52:53], v[20:21], v[102:103]
	v_mul_f64 v[20:21], v[26:27], s[44:45]
	v_add_f64 v[58:59], v[28:29], v[100:101]
	v_add_f64 v[14:15], v[14:15], v[44:45]
	;; [unrolled: 1-line block ×3, first 2 shown]
	v_fma_f64 v[22:23], v[178:179], s[4:5], -v[20:21]
	v_fma_f64 v[20:21], v[178:179], s[4:5], v[20:21]
	v_add_f64 v[48:49], v[22:23], v[104:105]
	v_mul_f64 v[22:23], v[24:25], s[44:45]
	v_add_f64 v[46:47], v[20:21], v[106:107]
	v_add_f64 v[106:107], v[152:153], -v[172:173]
	v_fma_f64 v[20:21], v[180:181], s[4:5], -v[22:23]
	v_fma_f64 v[28:29], v[180:181], s[4:5], v[22:23]
	v_mul_f64 v[246:247], v[106:107], s[36:37]
	v_mul_f64 v[250:251], v[106:107], s[30:31]
	;; [unrolled: 1-line block ×3, first 2 shown]
	v_add_f64 v[44:45], v[20:21], v[72:73]
	v_mul_f64 v[20:21], v[26:27], s[42:43]
	v_add_f64 v[50:51], v[28:29], v[74:75]
	v_mul_f64 v[72:73], v[24:25], s[26:27]
	v_add_f64 v[74:75], v[0:1], v[4:5]
	v_fma_f64 v[22:23], v[178:179], s[14:15], -v[20:21]
	v_fma_f64 v[20:21], v[178:179], s[14:15], v[20:21]
	v_add_f64 v[40:41], v[22:23], v[78:79]
	v_mul_f64 v[22:23], v[24:25], s[42:43]
	v_add_f64 v[38:39], v[20:21], v[76:77]
	v_add_f64 v[78:79], v[2:3], -v[6:7]
	v_add_f64 v[76:77], v[0:1], -v[4:5]
	v_fma_f64 v[20:21], v[180:181], s[14:15], -v[22:23]
	v_fma_f64 v[28:29], v[180:181], s[14:15], v[22:23]
	v_mul_f64 v[0:1], v[78:79], s[42:43]
	v_add_f64 v[36:37], v[20:21], v[84:85]
	v_mul_f64 v[20:21], v[26:27], s[38:39]
	v_add_f64 v[42:43], v[28:29], v[86:87]
	v_fma_f64 v[22:23], v[178:179], s[12:13], -v[20:21]
	v_fma_f64 v[20:21], v[178:179], s[12:13], v[20:21]
	v_add_f64 v[32:33], v[22:23], v[90:91]
	v_mul_f64 v[22:23], v[24:25], s[38:39]
	v_add_f64 v[30:31], v[20:21], v[88:89]
	v_fma_f64 v[28:29], v[180:181], s[12:13], v[22:23]
	v_fma_f64 v[20:21], v[180:181], s[12:13], -v[22:23]
	v_add_f64 v[34:35], v[28:29], v[94:95]
	v_add_f64 v[28:29], v[20:21], v[92:93]
	v_mul_f64 v[20:21], v[26:27], s[26:27]
	v_fma_f64 v[22:23], v[178:179], s[22:23], -v[20:21]
	v_fma_f64 v[20:21], v[178:179], s[22:23], v[20:21]
	v_add_f64 v[178:179], v[130:131], v[158:159]
	v_add_f64 v[26:27], v[22:23], v[96:97]
	v_fma_f64 v[22:23], v[180:181], s[22:23], v[72:73]
	v_add_f64 v[24:25], v[22:23], v[98:99]
	v_add_f64 v[22:23], v[20:21], v[109:110]
	v_fma_f64 v[20:21], v[180:181], s[22:23], -v[72:73]
	v_add_f64 v[72:73], v[2:3], v[6:7]
	v_fma_f64 v[2:3], v[74:75], s[14:15], -v[0:1]
	v_fma_f64 v[0:1], v[74:75], s[14:15], v[0:1]
	v_add_f64 v[20:21], v[20:21], v[176:177]
	v_add_f64 v[176:177], v[128:129], v[156:157]
	;; [unrolled: 1-line block ×3, first 2 shown]
	v_mul_f64 v[2:3], v[76:77], s[42:43]
	v_fma_f64 v[4:5], v[72:73], s[14:15], v[2:3]
	v_add_f64 v[70:71], v[4:5], v[70:71]
	v_add_f64 v[4:5], v[0:1], v[66:67]
	v_fma_f64 v[0:1], v[72:73], s[14:15], -v[2:3]
	buffer_store_dword v68, off, s[60:63], 0 offset:532 ; 4-byte Folded Spill
	buffer_store_dword v69, off, s[60:63], 0 offset:536 ; 4-byte Folded Spill
	;; [unrolled: 1-line block ×4, first 2 shown]
	v_add_f64 v[6:7], v[0:1], v[64:65]
	v_mul_f64 v[0:1], v[78:79], s[40:41]
	buffer_store_dword v4, off, s[60:63], 0 offset:516 ; 4-byte Folded Spill
	buffer_store_dword v5, off, s[60:63], 0 offset:520 ; 4-byte Folded Spill
	;; [unrolled: 1-line block ×4, first 2 shown]
	v_fma_f64 v[2:3], v[74:75], s[4:5], -v[0:1]
	v_fma_f64 v[0:1], v[74:75], s[4:5], v[0:1]
	v_add_f64 v[12:13], v[2:3], v[12:13]
	v_mul_f64 v[2:3], v[76:77], s[40:41]
	v_fma_f64 v[4:5], v[72:73], s[4:5], v[2:3]
	v_add_f64 v[14:15], v[4:5], v[14:15]
	v_add_f64 v[4:5], v[0:1], v[8:9]
	v_fma_f64 v[0:1], v[72:73], s[4:5], -v[2:3]
	buffer_store_dword v12, off, s[60:63], 0 offset:564 ; 4-byte Folded Spill
	buffer_store_dword v13, off, s[60:63], 0 offset:568 ; 4-byte Folded Spill
	;; [unrolled: 1-line block ×4, first 2 shown]
	v_add_f64 v[6:7], v[0:1], v[10:11]
	v_mul_f64 v[0:1], v[78:79], s[36:37]
	buffer_store_dword v4, off, s[60:63], 0 offset:548 ; 4-byte Folded Spill
	buffer_store_dword v5, off, s[60:63], 0 offset:552 ; 4-byte Folded Spill
	;; [unrolled: 1-line block ×4, first 2 shown]
	v_fma_f64 v[2:3], v[74:75], s[18:19], -v[0:1]
	v_fma_f64 v[0:1], v[74:75], s[18:19], v[0:1]
	v_add_f64 v[180:181], v[2:3], v[60:61]
	v_mul_f64 v[2:3], v[76:77], s[36:37]
	v_add_f64 v[16:17], v[0:1], v[16:17]
	v_add_f64 v[60:61], v[140:141], -v[112:113]
	v_fma_f64 v[0:1], v[72:73], s[18:19], -v[2:3]
	v_fma_f64 v[4:5], v[72:73], s[18:19], v[2:3]
	v_add_f64 v[18:19], v[0:1], v[18:19]
	v_mul_f64 v[0:1], v[78:79], s[38:39]
	v_add_f64 v[182:183], v[4:5], v[62:63]
	v_add_f64 v[62:63], v[142:143], -v[114:115]
	v_fma_f64 v[2:3], v[74:75], s[12:13], -v[0:1]
	v_fma_f64 v[0:1], v[74:75], s[12:13], v[0:1]
	v_add_f64 v[184:185], v[2:3], v[56:57]
	v_mul_f64 v[2:3], v[76:77], s[38:39]
	v_add_f64 v[188:189], v[0:1], v[54:55]
	v_fma_f64 v[0:1], v[72:73], s[12:13], -v[2:3]
	v_fma_f64 v[4:5], v[72:73], s[12:13], v[2:3]
	v_add_f64 v[190:191], v[0:1], v[52:53]
	v_mul_f64 v[0:1], v[78:79], s[34:35]
	v_add_f64 v[186:187], v[4:5], v[58:59]
	;; [unrolled: 5-line block ×9, first 2 shown]
	v_add_f64 v[22:23], v[134:135], v[82:83]
	v_fma_f64 v[0:1], v[72:73], s[20:21], -v[2:3]
	v_fma_f64 v[4:5], v[72:73], s[20:21], v[2:3]
	v_add_f64 v[2:3], v[134:135], -v[82:83]
	v_add_f64 v[222:223], v[0:1], v[20:21]
	v_add_f64 v[0:1], v[132:133], -v[80:81]
	v_add_f64 v[218:219], v[4:5], v[24:25]
	v_mul_f64 v[4:5], v[2:3], s[44:45]
	v_mul_f64 v[8:9], v[2:3], s[48:49]
	buffer_store_dword v4, off, s[60:63], 0 offset:580 ; 4-byte Folded Spill
	buffer_store_dword v5, off, s[60:63], 0 offset:584 ; 4-byte Folded Spill
	v_mul_f64 v[6:7], v[0:1], s[44:45]
	buffer_store_dword v6, off, s[60:63], 0 offset:596 ; 4-byte Folded Spill
	buffer_store_dword v7, off, s[60:63], 0 offset:600 ; 4-byte Folded Spill
	;; [unrolled: 3-line block ×3, first 2 shown]
	buffer_store_dword v10, off, s[60:63], 0 offset:628 ; 4-byte Folded Spill
	buffer_store_dword v11, off, s[60:63], 0 offset:632 ; 4-byte Folded Spill
	v_add_f64 v[20:21], v[132:133], v[80:81]
	v_fma_f64 v[4:5], v[20:21], s[4:5], v[4:5]
	v_add_f64 v[4:5], v[4:5], v[116:117]
	v_fma_f64 v[6:7], v[22:23], s[4:5], -v[6:7]
	v_fma_f64 v[24:25], v[20:21], s[12:13], v[8:9]
	v_mul_f64 v[8:9], v[2:3], s[54:55]
	buffer_store_dword v8, off, s[60:63], 0 offset:644 ; 4-byte Folded Spill
	buffer_store_dword v9, off, s[60:63], 0 offset:648 ; 4-byte Folded Spill
	v_add_f64 v[28:29], v[24:25], v[116:117]
	v_fma_f64 v[24:25], v[22:23], s[12:13], -v[10:11]
	v_mul_f64 v[10:11], v[0:1], s[54:55]
	buffer_store_dword v10, off, s[60:63], 0 offset:660 ; 4-byte Folded Spill
	buffer_store_dword v11, off, s[60:63], 0 offset:664 ; 4-byte Folded Spill
	v_add_f64 v[30:31], v[24:25], v[118:119]
	v_add_f64 v[6:7], v[6:7], v[118:119]
	v_fma_f64 v[24:25], v[20:21], s[16:17], v[8:9]
	v_mul_f64 v[8:9], v[2:3], s[46:47]
	buffer_store_dword v8, off, s[60:63], 0 offset:676 ; 4-byte Folded Spill
	buffer_store_dword v9, off, s[60:63], 0 offset:680 ; 4-byte Folded Spill
	v_add_f64 v[32:33], v[24:25], v[116:117]
	v_fma_f64 v[24:25], v[22:23], s[16:17], -v[10:11]
	v_mul_f64 v[10:11], v[0:1], s[46:47]
	buffer_store_dword v10, off, s[60:63], 0 offset:692 ; 4-byte Folded Spill
	buffer_store_dword v11, off, s[60:63], 0 offset:696 ; 4-byte Folded Spill
	v_add_f64 v[34:35], v[24:25], v[118:119]
	v_fma_f64 v[24:25], v[20:21], s[20:21], v[8:9]
	v_mul_f64 v[8:9], v[2:3], s[26:27]
	buffer_store_dword v8, off, s[60:63], 0 offset:708 ; 4-byte Folded Spill
	buffer_store_dword v9, off, s[60:63], 0 offset:712 ; 4-byte Folded Spill
	v_add_f64 v[36:37], v[24:25], v[116:117]
	v_fma_f64 v[24:25], v[22:23], s[20:21], -v[10:11]
	v_mul_f64 v[10:11], v[0:1], s[26:27]
	buffer_store_dword v10, off, s[60:63], 0 offset:724 ; 4-byte Folded Spill
	buffer_store_dword v11, off, s[60:63], 0 offset:728 ; 4-byte Folded Spill
	v_add_f64 v[38:39], v[24:25], v[118:119]
	v_fma_f64 v[24:25], v[20:21], s[22:23], v[8:9]
	v_mul_f64 v[8:9], v[2:3], s[34:35]
	buffer_store_dword v8, off, s[60:63], 0 offset:740 ; 4-byte Folded Spill
	buffer_store_dword v9, off, s[60:63], 0 offset:744 ; 4-byte Folded Spill
	v_add_f64 v[40:41], v[24:25], v[116:117]
	v_fma_f64 v[24:25], v[22:23], s[22:23], -v[10:11]
	v_mul_f64 v[10:11], v[0:1], s[34:35]
	buffer_store_dword v10, off, s[60:63], 0 offset:756 ; 4-byte Folded Spill
	buffer_store_dword v11, off, s[60:63], 0 offset:760 ; 4-byte Folded Spill
	v_add_f64 v[42:43], v[24:25], v[118:119]
	v_fma_f64 v[24:25], v[20:21], s[24:25], v[8:9]
	v_mul_f64 v[8:9], v[62:63], s[48:49]
	buffer_store_dword v8, off, s[60:63], 0 offset:772 ; 4-byte Folded Spill
	buffer_store_dword v9, off, s[60:63], 0 offset:776 ; 4-byte Folded Spill
	v_add_f64 v[44:45], v[24:25], v[116:117]
	v_fma_f64 v[24:25], v[22:23], s[24:25], -v[10:11]
	v_mul_f64 v[10:11], v[60:61], s[48:49]
	buffer_store_dword v10, off, s[60:63], 0 offset:788 ; 4-byte Folded Spill
	buffer_store_dword v11, off, s[60:63], 0 offset:792 ; 4-byte Folded Spill
	v_add_f64 v[46:47], v[24:25], v[118:119]
	v_mul_f64 v[24:25], v[2:3], s[36:37]
	v_mul_f64 v[2:3], v[2:3], s[42:43]
	v_fma_f64 v[26:27], v[20:21], s[18:19], -v[24:25]
	v_fma_f64 v[24:25], v[20:21], s[18:19], v[24:25]
	v_add_f64 v[48:49], v[26:27], v[116:117]
	v_mul_f64 v[26:27], v[0:1], s[36:37]
	v_add_f64 v[52:53], v[24:25], v[116:117]
	v_mul_f64 v[0:1], v[0:1], s[42:43]
	v_fma_f64 v[24:25], v[22:23], s[18:19], -v[26:27]
	v_fma_f64 v[50:51], v[22:23], s[18:19], v[26:27]
	v_add_f64 v[26:27], v[114:115], v[142:143]
	v_add_f64 v[54:55], v[24:25], v[118:119]
	v_fma_f64 v[24:25], v[20:21], s[14:15], -v[2:3]
	v_fma_f64 v[2:3], v[20:21], s[14:15], v[2:3]
	v_add_f64 v[50:51], v[50:51], v[118:119]
	v_add_f64 v[56:57], v[24:25], v[116:117]
	v_fma_f64 v[24:25], v[22:23], s[14:15], v[0:1]
	v_add_f64 v[2:3], v[2:3], v[116:117]
	v_fma_f64 v[0:1], v[22:23], s[14:15], -v[0:1]
	v_add_f64 v[58:59], v[24:25], v[118:119]
	v_add_f64 v[24:25], v[112:113], v[140:141]
	;; [unrolled: 1-line block ×3, first 2 shown]
	v_fma_f64 v[64:65], v[24:25], s[12:13], v[8:9]
	v_mul_f64 v[8:9], v[62:63], s[46:47]
	buffer_store_dword v8, off, s[60:63], 0 offset:804 ; 4-byte Folded Spill
	buffer_store_dword v9, off, s[60:63], 0 offset:808 ; 4-byte Folded Spill
	v_add_f64 v[4:5], v[4:5], v[64:65]
	v_fma_f64 v[64:65], v[26:27], s[12:13], -v[10:11]
	v_mul_f64 v[10:11], v[60:61], s[46:47]
	buffer_store_dword v10, off, s[60:63], 0 offset:820 ; 4-byte Folded Spill
	buffer_store_dword v11, off, s[60:63], 0 offset:824 ; 4-byte Folded Spill
	v_add_f64 v[6:7], v[64:65], v[6:7]
	v_fma_f64 v[64:65], v[24:25], s[20:21], v[8:9]
	v_mul_f64 v[8:9], v[62:63], s[34:35]
	buffer_store_dword v8, off, s[60:63], 0 offset:836 ; 4-byte Folded Spill
	buffer_store_dword v9, off, s[60:63], 0 offset:840 ; 4-byte Folded Spill
	v_add_f64 v[28:29], v[28:29], v[64:65]
	v_fma_f64 v[64:65], v[26:27], s[20:21], -v[10:11]
	v_mul_f64 v[10:11], v[60:61], s[34:35]
	buffer_store_dword v10, off, s[60:63], 0 offset:852 ; 4-byte Folded Spill
	buffer_store_dword v11, off, s[60:63], 0 offset:856 ; 4-byte Folded Spill
	v_add_f64 v[30:31], v[64:65], v[30:31]
	;; [unrolled: 10-line block ×5, first 2 shown]
	v_fma_f64 v[64:65], v[24:25], s[22:23], v[8:9]
	v_add_f64 v[44:45], v[44:45], v[64:65]
	v_fma_f64 v[64:65], v[26:27], s[22:23], -v[10:11]
	v_add_f64 v[46:47], v[64:65], v[46:47]
	v_mul_f64 v[64:65], v[62:63], s[30:31]
	v_mul_f64 v[62:63], v[62:63], s[40:41]
	v_fma_f64 v[66:67], v[24:25], s[16:17], -v[64:65]
	v_fma_f64 v[64:65], v[24:25], s[16:17], v[64:65]
	v_add_f64 v[48:49], v[48:49], v[66:67]
	v_mul_f64 v[66:67], v[60:61], s[30:31]
	v_add_f64 v[52:53], v[52:53], v[64:65]
	v_mul_f64 v[60:61], v[60:61], s[40:41]
	v_fma_f64 v[64:65], v[26:27], s[16:17], -v[66:67]
	v_fma_f64 v[68:69], v[26:27], s[16:17], v[66:67]
	v_add_f64 v[54:55], v[64:65], v[54:55]
	v_fma_f64 v[64:65], v[24:25], s[4:5], -v[62:63]
	v_fma_f64 v[62:63], v[24:25], s[4:5], v[62:63]
	v_add_f64 v[50:51], v[68:69], v[50:51]
	v_add_f64 v[68:69], v[122:123], v[146:147]
	;; [unrolled: 1-line block ×3, first 2 shown]
	v_fma_f64 v[64:65], v[26:27], s[4:5], v[60:61]
	v_add_f64 v[2:3], v[2:3], v[62:63]
	v_fma_f64 v[60:61], v[26:27], s[4:5], -v[60:61]
	v_add_f64 v[62:63], v[146:147], -v[122:123]
	v_add_f64 v[58:59], v[64:65], v[58:59]
	v_add_f64 v[64:65], v[120:121], v[144:145]
	;; [unrolled: 1-line block ×3, first 2 shown]
	v_add_f64 v[60:61], v[144:145], -v[120:121]
	v_mul_f64 v[8:9], v[62:63], s[54:55]
	buffer_store_dword v8, off, s[60:63], 0 offset:932 ; 4-byte Folded Spill
	buffer_store_dword v9, off, s[60:63], 0 offset:936 ; 4-byte Folded Spill
	v_mul_f64 v[10:11], v[60:61], s[54:55]
	buffer_store_dword v10, off, s[60:63], 0 offset:940 ; 4-byte Folded Spill
	buffer_store_dword v11, off, s[60:63], 0 offset:944 ; 4-byte Folded Spill
	v_fma_f64 v[66:67], v[64:65], s[16:17], v[8:9]
	v_mul_f64 v[8:9], v[62:63], s[34:35]
	buffer_store_dword v8, off, s[60:63], 0 offset:948 ; 4-byte Folded Spill
	buffer_store_dword v9, off, s[60:63], 0 offset:952 ; 4-byte Folded Spill
	v_add_f64 v[4:5], v[66:67], v[4:5]
	v_fma_f64 v[66:67], v[68:69], s[16:17], -v[10:11]
	v_mul_f64 v[10:11], v[60:61], s[34:35]
	buffer_store_dword v10, off, s[60:63], 0 offset:956 ; 4-byte Folded Spill
	buffer_store_dword v11, off, s[60:63], 0 offset:960 ; 4-byte Folded Spill
	v_add_f64 v[6:7], v[66:67], v[6:7]
	v_fma_f64 v[66:67], v[64:65], s[24:25], v[8:9]
	v_mul_f64 v[8:9], v[62:63], s[58:59]
	buffer_store_dword v8, off, s[60:63], 0 offset:964 ; 4-byte Folded Spill
	buffer_store_dword v9, off, s[60:63], 0 offset:968 ; 4-byte Folded Spill
	v_add_f64 v[28:29], v[66:67], v[28:29]
	v_fma_f64 v[66:67], v[68:69], s[24:25], -v[10:11]
	v_mul_f64 v[10:11], v[60:61], s[58:59]
	buffer_store_dword v10, off, s[60:63], 0 offset:972 ; 4-byte Folded Spill
	buffer_store_dword v11, off, s[60:63], 0 offset:976 ; 4-byte Folded Spill
	v_add_f64 v[30:31], v[66:67], v[30:31]
	;; [unrolled: 10-line block ×5, first 2 shown]
	v_fma_f64 v[66:67], v[64:65], s[4:5], v[8:9]
	v_add_f64 v[44:45], v[66:67], v[44:45]
	v_fma_f64 v[66:67], v[68:69], s[4:5], -v[10:11]
	v_add_f64 v[46:47], v[66:67], v[46:47]
	v_mul_f64 v[66:67], v[62:63], s[46:47]
	v_mul_f64 v[62:63], v[62:63], s[36:37]
	v_fma_f64 v[70:71], v[64:65], s[20:21], -v[66:67]
	v_fma_f64 v[66:67], v[64:65], s[20:21], v[66:67]
	v_add_f64 v[48:49], v[70:71], v[48:49]
	v_mul_f64 v[70:71], v[60:61], s[46:47]
	v_add_f64 v[52:53], v[66:67], v[52:53]
	v_mul_f64 v[60:61], v[60:61], s[36:37]
	v_fma_f64 v[66:67], v[68:69], s[20:21], -v[70:71]
	v_fma_f64 v[72:73], v[68:69], s[20:21], v[70:71]
	v_add_f64 v[54:55], v[66:67], v[54:55]
	v_fma_f64 v[66:67], v[64:65], s[18:19], -v[62:63]
	v_fma_f64 v[62:63], v[64:65], s[18:19], v[62:63]
	v_add_f64 v[50:51], v[72:73], v[50:51]
	v_add_f64 v[56:57], v[66:67], v[56:57]
	v_fma_f64 v[66:67], v[68:69], s[18:19], v[60:61]
	v_add_f64 v[2:3], v[62:63], v[2:3]
	v_fma_f64 v[60:61], v[68:69], s[18:19], -v[60:61]
	v_add_f64 v[62:63], v[138:139], -v[126:127]
	v_add_f64 v[58:59], v[66:67], v[58:59]
	v_add_f64 v[0:1], v[60:61], v[0:1]
	v_add_f64 v[60:61], v[136:137], -v[124:125]
	v_mul_f64 v[8:9], v[62:63], s[46:47]
	buffer_store_dword v8, off, s[60:63], 0 offset:1028 ; 4-byte Folded Spill
	buffer_store_dword v9, off, s[60:63], 0 offset:1032 ; 4-byte Folded Spill
	v_mul_f64 v[10:11], v[60:61], s[46:47]
	buffer_store_dword v10, off, s[60:63], 0 offset:1036 ; 4-byte Folded Spill
	buffer_store_dword v11, off, s[60:63], 0 offset:1040 ; 4-byte Folded Spill
	v_fma_f64 v[66:67], v[228:229], s[20:21], v[8:9]
	v_mul_f64 v[8:9], v[62:63], s[42:43]
	buffer_store_dword v8, off, s[60:63], 0 offset:1044 ; 4-byte Folded Spill
	buffer_store_dword v9, off, s[60:63], 0 offset:1048 ; 4-byte Folded Spill
	v_add_f64 v[4:5], v[66:67], v[4:5]
	v_fma_f64 v[66:67], v[232:233], s[20:21], -v[10:11]
	v_mul_f64 v[10:11], v[60:61], s[42:43]
	buffer_store_dword v10, off, s[60:63], 0 offset:1052 ; 4-byte Folded Spill
	buffer_store_dword v11, off, s[60:63], 0 offset:1056 ; 4-byte Folded Spill
	v_add_f64 v[6:7], v[66:67], v[6:7]
	v_fma_f64 v[66:67], v[228:229], s[14:15], v[8:9]
	v_mul_f64 v[8:9], v[62:63], s[52:53]
	buffer_store_dword v8, off, s[60:63], 0 offset:1060 ; 4-byte Folded Spill
	buffer_store_dword v9, off, s[60:63], 0 offset:1064 ; 4-byte Folded Spill
	v_add_f64 v[28:29], v[66:67], v[28:29]
	v_fma_f64 v[66:67], v[232:233], s[14:15], -v[10:11]
	v_mul_f64 v[10:11], v[60:61], s[52:53]
	buffer_store_dword v10, off, s[60:63], 0 offset:1068 ; 4-byte Folded Spill
	buffer_store_dword v11, off, s[60:63], 0 offset:1072 ; 4-byte Folded Spill
	v_add_f64 v[30:31], v[66:67], v[30:31]
	;; [unrolled: 10-line block ×5, first 2 shown]
	v_fma_f64 v[66:67], v[228:229], s[18:19], v[8:9]
	v_add_f64 v[44:45], v[66:67], v[44:45]
	v_fma_f64 v[66:67], v[232:233], s[18:19], -v[10:11]
	v_add_f64 v[46:47], v[66:67], v[46:47]
	v_mul_f64 v[66:67], v[62:63], s[50:51]
	v_mul_f64 v[62:63], v[62:63], s[38:39]
	v_fma_f64 v[70:71], v[228:229], s[24:25], -v[66:67]
	v_fma_f64 v[66:67], v[228:229], s[24:25], v[66:67]
	v_add_f64 v[48:49], v[70:71], v[48:49]
	v_mul_f64 v[70:71], v[60:61], s[50:51]
	v_add_f64 v[52:53], v[66:67], v[52:53]
	v_mul_f64 v[60:61], v[60:61], s[38:39]
	v_fma_f64 v[66:67], v[232:233], s[24:25], -v[70:71]
	v_fma_f64 v[72:73], v[232:233], s[24:25], v[70:71]
	v_add_f64 v[54:55], v[66:67], v[54:55]
	v_fma_f64 v[66:67], v[228:229], s[12:13], -v[62:63]
	v_fma_f64 v[62:63], v[228:229], s[12:13], v[62:63]
	v_add_f64 v[50:51], v[72:73], v[50:51]
	v_add_f64 v[56:57], v[66:67], v[56:57]
	v_fma_f64 v[66:67], v[232:233], s[12:13], v[60:61]
	v_add_f64 v[2:3], v[62:63], v[2:3]
	v_fma_f64 v[60:61], v[232:233], s[12:13], -v[60:61]
	v_add_f64 v[62:63], v[158:159], -v[130:131]
	v_add_f64 v[58:59], v[66:67], v[58:59]
	v_add_f64 v[0:1], v[60:61], v[0:1]
	v_add_f64 v[60:61], v[156:157], -v[128:129]
	v_mul_f64 v[8:9], v[62:63], s[26:27]
	buffer_store_dword v8, off, s[60:63], 0 offset:1124 ; 4-byte Folded Spill
	buffer_store_dword v9, off, s[60:63], 0 offset:1128 ; 4-byte Folded Spill
	v_mul_f64 v[10:11], v[60:61], s[26:27]
	buffer_store_dword v10, off, s[60:63], 0 offset:1132 ; 4-byte Folded Spill
	buffer_store_dword v11, off, s[60:63], 0 offset:1136 ; 4-byte Folded Spill
	v_fma_f64 v[66:67], v[176:177], s[22:23], v[8:9]
	v_mul_f64 v[8:9], v[62:63], s[56:57]
	buffer_store_dword v8, off, s[60:63], 0 offset:1140 ; 4-byte Folded Spill
	buffer_store_dword v9, off, s[60:63], 0 offset:1144 ; 4-byte Folded Spill
	v_add_f64 v[4:5], v[66:67], v[4:5]
	v_fma_f64 v[66:67], v[178:179], s[22:23], -v[10:11]
	v_mul_f64 v[10:11], v[60:61], s[56:57]
	buffer_store_dword v10, off, s[60:63], 0 offset:1148 ; 4-byte Folded Spill
	buffer_store_dword v11, off, s[60:63], 0 offset:1152 ; 4-byte Folded Spill
	v_add_f64 v[6:7], v[66:67], v[6:7]
	v_fma_f64 v[66:67], v[176:177], s[18:19], v[8:9]
	v_mul_f64 v[8:9], v[62:63], s[38:39]
	buffer_store_dword v8, off, s[60:63], 0 offset:1156 ; 4-byte Folded Spill
	buffer_store_dword v9, off, s[60:63], 0 offset:1160 ; 4-byte Folded Spill
	v_add_f64 v[28:29], v[66:67], v[28:29]
	v_fma_f64 v[66:67], v[178:179], s[18:19], -v[10:11]
	v_mul_f64 v[10:11], v[60:61], s[38:39]
	buffer_store_dword v10, off, s[60:63], 0 offset:1164 ; 4-byte Folded Spill
	buffer_store_dword v11, off, s[60:63], 0 offset:1168 ; 4-byte Folded Spill
	v_add_f64 v[30:31], v[66:67], v[30:31]
	;; [unrolled: 10-line block ×5, first 2 shown]
	v_fma_f64 v[66:67], v[176:177], s[20:21], v[8:9]
	v_add_f64 v[44:45], v[66:67], v[44:45]
	v_fma_f64 v[66:67], v[178:179], s[20:21], -v[10:11]
	v_add_f64 v[46:47], v[66:67], v[46:47]
	v_mul_f64 v[66:67], v[62:63], s[44:45]
	v_fma_f64 v[70:71], v[176:177], s[4:5], -v[66:67]
	v_add_f64 v[70:71], v[70:71], v[48:49]
	v_mul_f64 v[48:49], v[60:61], s[44:45]
	v_fma_f64 v[72:73], v[178:179], s[4:5], v[48:49]
	v_fma_f64 v[48:49], v[178:179], s[4:5], -v[48:49]
	v_add_f64 v[88:89], v[72:73], v[50:51]
	v_add_f64 v[54:55], v[48:49], v[54:55]
	v_mul_f64 v[48:49], v[62:63], s[34:35]
	v_add_f64 v[62:63], v[150:151], -v[162:163]
	v_fma_f64 v[50:51], v[176:177], s[4:5], v[66:67]
	v_mul_f64 v[8:9], v[62:63], s[34:35]
	buffer_store_dword v8, off, s[60:63], 0 offset:1220 ; 4-byte Folded Spill
	buffer_store_dword v9, off, s[60:63], 0 offset:1224 ; 4-byte Folded Spill
	v_add_f64 v[52:53], v[50:51], v[52:53]
	v_fma_f64 v[50:51], v[176:177], s[24:25], -v[48:49]
	v_fma_f64 v[48:49], v[176:177], s[24:25], v[48:49]
	v_mul_f64 v[109:110], v[62:63], s[44:45]
	v_mul_f64 v[230:231], v[62:63], s[28:29]
	;; [unrolled: 1-line block ×3, first 2 shown]
	v_add_f64 v[56:57], v[50:51], v[56:57]
	v_mul_f64 v[50:51], v[60:61], s[34:35]
	v_add_f64 v[2:3], v[48:49], v[2:3]
	v_fma_f64 v[60:61], v[178:179], s[24:25], v[50:51]
	v_fma_f64 v[48:49], v[178:179], s[24:25], -v[50:51]
	v_add_f64 v[50:51], v[150:151], v[162:163]
	v_add_f64 v[58:59], v[60:61], v[58:59]
	;; [unrolled: 1-line block ×4, first 2 shown]
	v_add_f64 v[60:61], v[148:149], -v[160:161]
	v_fma_f64 v[84:85], v[48:49], s[4:5], v[109:110]
	v_mul_f64 v[10:11], v[60:61], s[34:35]
	v_mul_f64 v[78:79], v[60:61], s[52:53]
	;; [unrolled: 1-line block ×5, first 2 shown]
	v_add_f64 v[32:33], v[84:85], v[32:33]
	v_mov_b32_e32 v213, v11
	v_mov_b32_e32 v212, v10
	v_fma_f64 v[66:67], v[48:49], s[24:25], v[8:9]
	v_mul_f64 v[8:9], v[62:63], s[52:53]
	v_add_f64 v[66:67], v[66:67], v[4:5]
	v_fma_f64 v[4:5], v[50:51], s[24:25], -v[10:11]
	v_add_f64 v[6:7], v[4:5], v[6:7]
	v_fma_f64 v[4:5], v[48:49], s[22:23], v[8:9]
	v_add_f64 v[28:29], v[4:5], v[28:29]
	v_fma_f64 v[4:5], v[50:51], s[22:23], -v[78:79]
	v_add_f64 v[30:31], v[4:5], v[30:31]
	v_mul_f64 v[4:5], v[60:61], s[44:45]
	v_fma_f64 v[84:85], v[50:51], s[4:5], -v[4:5]
	v_add_f64 v[34:35], v[84:85], v[34:35]
	v_mul_f64 v[84:85], v[62:63], s[36:37]
	v_fma_f64 v[90:91], v[48:49], s[18:19], v[84:85]
	v_add_f64 v[36:37], v[90:91], v[36:37]
	v_fma_f64 v[90:91], v[50:51], s[18:19], -v[86:87]
	v_add_f64 v[38:39], v[90:91], v[38:39]
	v_fma_f64 v[90:91], v[48:49], s[20:21], v[230:231]
	v_add_f64 v[40:41], v[90:91], v[40:41]
	v_fma_f64 v[90:91], v[50:51], s[20:21], -v[234:235]
	v_add_f64 v[42:43], v[90:91], v[42:43]
	;; [unrolled: 4-line block ×3, first 2 shown]
	v_mul_f64 v[90:91], v[62:63], s[42:43]
	v_mul_f64 v[62:63], v[62:63], s[30:31]
	v_fma_f64 v[92:93], v[48:49], s[14:15], -v[90:91]
	v_fma_f64 v[90:91], v[48:49], s[14:15], v[90:91]
	v_add_f64 v[70:71], v[92:93], v[70:71]
	v_mul_f64 v[92:93], v[60:61], s[42:43]
	v_add_f64 v[52:53], v[90:91], v[52:53]
	v_fma_f64 v[90:91], v[50:51], s[14:15], -v[92:93]
	v_fma_f64 v[94:95], v[50:51], s[14:15], v[92:93]
	v_add_f64 v[54:55], v[90:91], v[54:55]
	v_fma_f64 v[90:91], v[48:49], s[16:17], -v[62:63]
	v_add_f64 v[88:89], v[94:95], v[88:89]
	v_add_f64 v[100:101], v[90:91], v[56:57]
	v_mul_f64 v[56:57], v[60:61], s[30:31]
	v_fma_f64 v[60:61], v[50:51], s[16:17], v[56:57]
	v_add_f64 v[102:103], v[60:61], v[58:59]
	v_fma_f64 v[58:59], v[48:49], s[16:17], v[62:63]
	v_add_f64 v[104:105], v[58:59], v[2:3]
	v_fma_f64 v[2:3], v[50:51], s[16:17], -v[56:57]
	v_add_f64 v[0:1], v[2:3], v[0:1]
	v_fma_f64 v[2:3], v[224:225], s[18:19], v[244:245]
	v_add_f64 v[72:73], v[2:3], v[66:67]
	v_fma_f64 v[2:3], v[226:227], s[18:19], -v[246:247]
	v_add_f64 v[6:7], v[2:3], v[6:7]
	v_fma_f64 v[2:3], v[224:225], s[16:17], v[248:249]
	v_add_f64 v[74:75], v[2:3], v[28:29]
	v_fma_f64 v[2:3], v[226:227], s[16:17], -v[250:251]
	v_mul_f64 v[28:29], v[240:241], s[50:51]
	v_add_f64 v[76:77], v[2:3], v[30:31]
	v_fma_f64 v[2:3], v[224:225], s[20:21], v[252:253]
	v_mul_f64 v[30:31], v[106:107], s[50:51]
	v_add_f64 v[58:59], v[2:3], v[32:33]
	v_fma_f64 v[2:3], v[226:227], s[20:21], -v[254:255]
	v_mul_f64 v[32:33], v[240:241], s[44:45]
	v_add_f64 v[56:57], v[2:3], v[34:35]
	v_fma_f64 v[2:3], v[224:225], s[24:25], v[28:29]
	v_mul_f64 v[34:35], v[106:107], s[44:45]
	v_add_f64 v[62:63], v[2:3], v[36:37]
	v_fma_f64 v[2:3], v[226:227], s[24:25], -v[30:31]
	v_mul_f64 v[36:37], v[240:241], s[42:43]
	v_add_f64 v[60:61], v[2:3], v[38:39]
	v_fma_f64 v[2:3], v[224:225], s[4:5], v[32:33]
	v_fma_f64 v[10:11], v[224:225], s[14:15], v[36:37]
	v_add_f64 v[66:67], v[2:3], v[40:41]
	v_fma_f64 v[2:3], v[226:227], s[4:5], -v[34:35]
	v_add_f64 v[98:99], v[10:11], v[44:45]
	v_add_f64 v[2:3], v[2:3], v[42:43]
	v_mul_f64 v[42:43], v[106:107], s[42:43]
	v_fma_f64 v[10:11], v[226:227], s[14:15], -v[42:43]
	v_add_f64 v[96:97], v[10:11], v[46:47]
	v_mul_f64 v[10:11], v[240:241], s[38:39]
	v_fma_f64 v[38:39], v[224:225], s[12:13], -v[10:11]
	v_fma_f64 v[10:11], v[224:225], s[12:13], v[10:11]
	v_add_f64 v[92:93], v[38:39], v[70:71]
	v_mul_f64 v[38:39], v[106:107], s[38:39]
	v_add_f64 v[90:91], v[10:11], v[52:53]
	v_add_f64 v[70:71], v[166:167], -v[170:171]
	v_fma_f64 v[40:41], v[226:227], s[12:13], v[38:39]
	v_fma_f64 v[10:11], v[226:227], s[12:13], -v[38:39]
	v_add_f64 v[94:95], v[40:41], v[88:89]
	v_add_f64 v[88:89], v[10:11], v[54:55]
	v_mul_f64 v[10:11], v[240:241], s[26:27]
	v_add_f64 v[240:241], v[164:165], v[168:169]
	v_fma_f64 v[38:39], v[224:225], s[22:23], -v[10:11]
	v_fma_f64 v[10:11], v[224:225], s[22:23], v[10:11]
	v_add_f64 v[100:101], v[38:39], v[100:101]
	v_mul_f64 v[38:39], v[106:107], s[26:27]
	v_add_f64 v[104:105], v[10:11], v[104:105]
	v_fma_f64 v[10:11], v[226:227], s[22:23], -v[38:39]
	v_fma_f64 v[40:41], v[226:227], s[22:23], v[38:39]
	v_mul_f64 v[38:39], v[70:71], s[42:43]
	v_add_f64 v[106:107], v[10:11], v[0:1]
	v_add_f64 v[0:1], v[164:165], -v[168:169]
	v_add_f64 v[102:103], v[40:41], v[102:103]
	v_fma_f64 v[10:11], v[240:241], s[14:15], v[38:39]
	v_mul_f64 v[40:41], v[0:1], s[42:43]
	v_add_f64 v[44:45], v[10:11], v[72:73]
	v_fma_f64 v[10:11], v[242:243], s[14:15], -v[40:41]
	v_add_f64 v[46:47], v[10:11], v[6:7]
	buffer_store_dword v44, off, s[60:63], 0 offset:4 ; 4-byte Folded Spill
	buffer_store_dword v45, off, s[60:63], 0 offset:8 ; 4-byte Folded Spill
	buffer_store_dword v46, off, s[60:63], 0 offset:12 ; 4-byte Folded Spill
	buffer_store_dword v47, off, s[60:63], 0 offset:16 ; 4-byte Folded Spill
	v_mul_f64 v[44:45], v[70:71], s[40:41]
	v_mul_f64 v[46:47], v[0:1], s[40:41]
	v_fma_f64 v[6:7], v[240:241], s[4:5], v[44:45]
	v_add_f64 v[52:53], v[6:7], v[74:75]
	v_fma_f64 v[6:7], v[242:243], s[4:5], -v[46:47]
	v_add_f64 v[54:55], v[6:7], v[76:77]
	buffer_store_dword v52, off, s[60:63], 0 offset:20 ; 4-byte Folded Spill
	buffer_store_dword v53, off, s[60:63], 0 offset:24 ; 4-byte Folded Spill
	;; [unrolled: 1-line block ×4, first 2 shown]
	v_mul_f64 v[52:53], v[70:71], s[36:37]
	v_mul_f64 v[54:55], v[0:1], s[36:37]
	v_fma_f64 v[6:7], v[240:241], s[18:19], v[52:53]
	v_add_f64 v[72:73], v[6:7], v[58:59]
	v_fma_f64 v[6:7], v[242:243], s[18:19], -v[54:55]
	v_mul_f64 v[58:59], v[0:1], s[38:39]
	v_add_f64 v[74:75], v[6:7], v[56:57]
	v_mul_f64 v[56:57], v[70:71], s[38:39]
	buffer_store_dword v72, off, s[60:63], 0 offset:36 ; 4-byte Folded Spill
	buffer_store_dword v73, off, s[60:63], 0 offset:40 ; 4-byte Folded Spill
	buffer_store_dword v74, off, s[60:63], 0 offset:44 ; 4-byte Folded Spill
	buffer_store_dword v75, off, s[60:63], 0 offset:48 ; 4-byte Folded Spill
	v_fma_f64 v[6:7], v[240:241], s[12:13], v[56:57]
	v_add_f64 v[72:73], v[6:7], v[62:63]
	v_fma_f64 v[6:7], v[242:243], s[12:13], -v[58:59]
	v_mul_f64 v[62:63], v[0:1], s[34:35]
	v_add_f64 v[74:75], v[6:7], v[60:61]
	v_mul_f64 v[60:61], v[70:71], s[34:35]
	buffer_store_dword v72, off, s[60:63], 0 offset:52 ; 4-byte Folded Spill
	buffer_store_dword v73, off, s[60:63], 0 offset:56 ; 4-byte Folded Spill
	;; [unrolled: 1-line block ×4, first 2 shown]
	v_fma_f64 v[6:7], v[240:241], s[24:25], v[60:61]
	v_add_f64 v[72:73], v[6:7], v[66:67]
	v_fma_f64 v[6:7], v[242:243], s[24:25], -v[62:63]
	v_mul_f64 v[66:67], v[70:71], s[30:31]
	v_add_f64 v[74:75], v[6:7], v[2:3]
	v_mul_f64 v[2:3], v[0:1], s[30:31]
	v_fma_f64 v[6:7], v[240:241], s[16:17], v[66:67]
	buffer_store_dword v72, off, s[60:63], 0 offset:68 ; 4-byte Folded Spill
	buffer_store_dword v73, off, s[60:63], 0 offset:72 ; 4-byte Folded Spill
	buffer_store_dword v74, off, s[60:63], 0 offset:76 ; 4-byte Folded Spill
	buffer_store_dword v75, off, s[60:63], 0 offset:80 ; 4-byte Folded Spill
	v_add_f64 v[72:73], v[6:7], v[98:99]
	v_fma_f64 v[6:7], v[242:243], s[16:17], -v[2:3]
	v_add_f64 v[74:75], v[6:7], v[96:97]
	v_mul_f64 v[6:7], v[70:71], s[26:27]
	buffer_store_dword v72, off, s[60:63], 0 offset:84 ; 4-byte Folded Spill
	buffer_store_dword v73, off, s[60:63], 0 offset:88 ; 4-byte Folded Spill
	;; [unrolled: 1-line block ×4, first 2 shown]
	v_fma_f64 v[10:11], v[240:241], s[22:23], -v[6:7]
	v_fma_f64 v[6:7], v[240:241], s[22:23], v[6:7]
	v_add_f64 v[74:75], v[10:11], v[92:93]
	v_mul_f64 v[10:11], v[0:1], s[26:27]
	v_mul_f64 v[0:1], v[0:1], s[28:29]
	v_fma_f64 v[72:73], v[242:243], s[22:23], v[10:11]
	v_add_f64 v[76:77], v[72:73], v[94:95]
	v_add_f64 v[72:73], v[6:7], v[90:91]
	v_fma_f64 v[6:7], v[242:243], s[22:23], -v[10:11]
	buffer_store_dword v74, off, s[60:63], 0 offset:100 ; 4-byte Folded Spill
	buffer_store_dword v75, off, s[60:63], 0 offset:104 ; 4-byte Folded Spill
	buffer_store_dword v76, off, s[60:63], 0 offset:108 ; 4-byte Folded Spill
	buffer_store_dword v77, off, s[60:63], 0 offset:112 ; 4-byte Folded Spill
	v_add_f64 v[74:75], v[6:7], v[88:89]
	v_mul_f64 v[6:7], v[70:71], s[28:29]
	buffer_store_dword v72, off, s[60:63], 0 offset:116 ; 4-byte Folded Spill
	buffer_store_dword v73, off, s[60:63], 0 offset:120 ; 4-byte Folded Spill
	;; [unrolled: 1-line block ×4, first 2 shown]
	v_fma_f64 v[10:11], v[240:241], s[20:21], -v[6:7]
	v_fma_f64 v[6:7], v[240:241], s[20:21], v[6:7]
	v_add_f64 v[70:71], v[10:11], v[100:101]
	v_fma_f64 v[10:11], v[242:243], s[20:21], v[0:1]
	v_fma_f64 v[0:1], v[242:243], s[20:21], -v[0:1]
	v_add_f64 v[72:73], v[10:11], v[102:103]
	buffer_store_dword v70, off, s[60:63], 0 offset:132 ; 4-byte Folded Spill
	buffer_store_dword v71, off, s[60:63], 0 offset:136 ; 4-byte Folded Spill
	buffer_store_dword v72, off, s[60:63], 0 offset:140 ; 4-byte Folded Spill
	buffer_store_dword v73, off, s[60:63], 0 offset:144 ; 4-byte Folded Spill
	v_add_f64 v[70:71], v[6:7], v[104:105]
	v_add_f64 v[72:73], v[0:1], v[106:107]
	buffer_store_dword v70, off, s[60:63], 0 offset:148 ; 4-byte Folded Spill
	buffer_store_dword v71, off, s[60:63], 0 offset:152 ; 4-byte Folded Spill
	;; [unrolled: 1-line block ×4, first 2 shown]
	s_waitcnt_vscnt null, 0x0
	s_barrier
	buffer_gl0_inv
	s_clause 0x4
	buffer_load_dword v1, off, s[60:63], 0
	buffer_load_dword v70, off, s[60:63], 0 offset:500
	buffer_load_dword v71, off, s[60:63], 0 offset:504
	;; [unrolled: 1-line block ×4, first 2 shown]
	v_mul_lo_u16 v0, v111, 17
	v_and_b32_e32 v0, 0xffff, v0
	s_waitcnt vmcnt(4)
	v_lshlrev_b32_e32 v1, 4, v1
	v_lshl_add_u32 v111, v0, 4, v1
	s_waitcnt vmcnt(0)
	ds_write_b128 v111, v[70:73]
	s_clause 0x3
	buffer_load_dword v70, off, s[60:63], 0 offset:532
	buffer_load_dword v71, off, s[60:63], 0 offset:536
	buffer_load_dword v72, off, s[60:63], 0 offset:540
	buffer_load_dword v73, off, s[60:63], 0 offset:544
	s_waitcnt vmcnt(0)
	ds_write_b128 v111, v[70:73] offset:16
	s_clause 0x3
	buffer_load_dword v70, off, s[60:63], 0 offset:564
	buffer_load_dword v71, off, s[60:63], 0 offset:568
	;; [unrolled: 1-line block ×4, first 2 shown]
	s_waitcnt vmcnt(0)
	ds_write_b128 v111, v[70:73] offset:32
	ds_write_b128 v111, v[180:183] offset:48
	ds_write_b128 v111, v[184:187] offset:64
	ds_write_b128 v111, v[192:195] offset:80
	ds_write_b128 v111, v[200:203] offset:96
	ds_write_b128 v111, v[208:211] offset:112
	ds_write_b128 v111, v[216:219] offset:128
	ds_write_b128 v111, v[220:223] offset:144
	ds_write_b128 v111, v[12:15] offset:160
	ds_write_b128 v111, v[204:207] offset:176
	ds_write_b128 v111, v[196:199] offset:192
	ds_write_b128 v111, v[188:191] offset:208
	ds_write_b128 v111, v[16:19] offset:224
	s_clause 0x3
	buffer_load_dword v10, off, s[60:63], 0 offset:548
	buffer_load_dword v11, off, s[60:63], 0 offset:552
	;; [unrolled: 1-line block ×4, first 2 shown]
	v_mov_b32_e32 v208, v1
	s_waitcnt vmcnt(0)
	ds_write_b128 v111, v[10:13] offset:240
	s_clause 0x4
	buffer_load_dword v10, off, s[60:63], 0 offset:516
	buffer_load_dword v11, off, s[60:63], 0 offset:520
	;; [unrolled: 1-line block ×5, first 2 shown]
	s_waitcnt vmcnt(1)
	ds_write_b128 v111, v[10:13] offset:256
	s_waitcnt vmcnt(0)
	v_mul_u32_u24_e32 v0, 17, v0
	buffer_store_dword v0, off, s[60:63], 0 offset:496 ; 4-byte Folded Spill
	s_and_saveexec_b32 s26, vcc_lo
	s_cbranch_execz .LBB0_7
; %bb.6:
	s_clause 0x13
	buffer_load_dword v12, off, s[60:63], 0 offset:756
	buffer_load_dword v13, off, s[60:63], 0 offset:760
	;; [unrolled: 1-line block ×20, first 2 shown]
	v_mul_f64 v[10:11], v[22:23], s[24:25]
	v_add_f64 v[0:1], v[134:135], v[118:119]
	v_add_f64 v[6:7], v[132:133], v[116:117]
	v_mul_f64 v[92:93], v[178:179], s[20:21]
	v_mul_f64 v[102:103], v[176:177], s[20:21]
	;; [unrolled: 1-line block ×8, first 2 shown]
	v_add_f64 v[0:1], v[142:143], v[0:1]
	v_add_f64 v[6:7], v[140:141], v[6:7]
	;; [unrolled: 1-line block ×3, first 2 shown]
	v_add_f64 v[200:201], v[200:201], -v[248:249]
	v_add_f64 v[58:59], v[58:59], v[206:207]
	v_add_f64 v[202:203], v[246:247], v[202:203]
	v_add_f64 v[204:205], v[204:205], -v[244:245]
	v_add_f64 v[196:197], v[196:197], -v[252:253]
	v_add_f64 v[0:1], v[146:147], v[0:1]
	v_add_f64 v[6:7], v[144:145], v[6:7]
	;; [unrolled: 1-line block ×20, first 2 shown]
	v_mul_f64 v[130:131], v[176:177], s[14:15]
	v_add_f64 v[0:1], v[126:127], v[0:1]
	v_add_f64 v[6:7], v[124:125], v[6:7]
	;; [unrolled: 1-line block ×4, first 2 shown]
	v_mul_f64 v[120:121], v[178:179], s[14:15]
	s_waitcnt vmcnt(18)
	v_add_f64 v[10:11], v[12:13], v[10:11]
	v_mul_f64 v[12:13], v[20:21], s[24:25]
	v_add_f64 v[10:11], v[10:11], v[118:119]
	s_waitcnt vmcnt(16)
	v_add_f64 v[12:13], v[12:13], -v[14:15]
	v_mul_f64 v[14:15], v[22:23], s[22:23]
	v_add_f64 v[12:13], v[12:13], v[116:117]
	s_waitcnt vmcnt(14)
	v_add_f64 v[14:15], v[16:17], v[14:15]
	v_mul_f64 v[16:17], v[20:21], s[22:23]
	v_add_f64 v[14:15], v[14:15], v[118:119]
	s_waitcnt vmcnt(12)
	v_add_f64 v[16:17], v[16:17], -v[18:19]
	v_mul_f64 v[18:19], v[22:23], s[20:21]
	v_add_f64 v[16:17], v[16:17], v[116:117]
	;; [unrolled: 8-line block ×3, first 2 shown]
	s_waitcnt vmcnt(6)
	v_add_f64 v[72:73], v[74:75], v[72:73]
	v_mul_f64 v[74:75], v[20:21], s[16:17]
	v_add_f64 v[72:73], v[72:73], v[118:119]
	s_waitcnt vmcnt(4)
	v_add_f64 v[74:75], v[74:75], -v[76:77]
	v_mul_f64 v[76:77], v[22:23], s[12:13]
	v_mul_f64 v[22:23], v[22:23], s[4:5]
	v_add_f64 v[74:75], v[74:75], v[116:117]
	s_waitcnt vmcnt(2)
	v_add_f64 v[76:77], v[88:89], v[76:77]
	v_mul_f64 v[88:89], v[20:21], s[12:13]
	v_mul_f64 v[20:21], v[20:21], s[4:5]
	v_add_f64 v[76:77], v[76:77], v[118:119]
	s_waitcnt vmcnt(0)
	v_add_f64 v[88:89], v[88:89], -v[90:91]
	s_clause 0x1
	buffer_load_dword v90, off, s[60:63], 0 offset:596
	buffer_load_dword v91, off, s[60:63], 0 offset:600
	v_add_f64 v[88:89], v[88:89], v[116:117]
	s_waitcnt vmcnt(0)
	v_add_f64 v[22:23], v[90:91], v[22:23]
	s_clause 0xd
	buffer_load_dword v90, off, s[60:63], 0 offset:580
	buffer_load_dword v91, off, s[60:63], 0 offset:584
	;; [unrolled: 1-line block ×14, first 2 shown]
	v_add_f64 v[22:23], v[22:23], v[118:119]
	s_waitcnt vmcnt(12)
	v_add_f64 v[20:21], v[20:21], -v[90:91]
	s_waitcnt vmcnt(10)
	v_add_f64 v[92:93], v[94:95], v[92:93]
	v_mul_f64 v[94:95], v[232:233], s[18:19]
	v_mul_f64 v[90:91], v[242:243], s[16:17]
	s_waitcnt vmcnt(2)
	v_add_f64 v[102:103], v[102:103], -v[104:105]
	v_mul_f64 v[104:105], v[228:229], s[18:19]
	v_add_f64 v[20:21], v[20:21], v[116:117]
	s_clause 0x3e
	buffer_load_dword v116, off, s[60:63], 0 offset:1012
	buffer_load_dword v117, off, s[60:63], 0 offset:1016
	;; [unrolled: 1-line block ×63, first 2 shown]
	s_clause 0x6
	buffer_load_dword v187, off, s[60:63], 0 offset:1048
	buffer_load_dword v188, off, s[60:63], 0 offset:948
	;; [unrolled: 1-line block ×7, first 2 shown]
	v_add_f64 v[94:95], v[96:97], v[94:95]
	v_mul_f64 v[96:97], v[68:69], s[4:5]
	s_waitcnt vmcnt(62)
	v_add_f64 v[104:105], v[104:105], -v[106:107]
	v_mul_f64 v[106:107], v[64:65], s[4:5]
	v_add_f64 v[2:3], v[2:3], v[90:91]
	v_mul_f64 v[90:91], v[226:227], s[14:15]
	v_add_f64 v[96:97], v[98:99], v[96:97]
	;; [unrolled: 2-line block ×5, first 2 shown]
	v_add_f64 v[10:11], v[98:99], v[10:11]
	v_add_f64 v[66:67], v[100:101], -v[66:67]
	v_mul_f64 v[100:101], v[224:225], s[14:15]
	v_add_f64 v[10:11], v[96:97], v[10:11]
	v_add_f64 v[36:37], v[100:101], -v[36:37]
	v_mul_f64 v[100:101], v[48:49], s[12:13]
	v_add_f64 v[10:11], v[94:95], v[10:11]
	v_add_f64 v[100:101], v[100:101], -v[236:237]
	v_add_f64 v[10:11], v[92:93], v[10:11]
	v_add_f64 v[10:11], v[90:91], v[10:11]
	;; [unrolled: 1-line block ×4, first 2 shown]
	v_add_f64 v[106:107], v[106:107], -v[116:117]
	v_mul_f64 v[116:117], v[24:25], s[22:23]
	v_add_f64 v[120:121], v[122:123], v[120:121]
	v_mul_f64 v[122:123], v[232:233], s[16:17]
	s_waitcnt vmcnt(56)
	v_add_f64 v[130:131], v[130:131], -v[132:133]
	v_mul_f64 v[132:133], v[228:229], s[16:17]
	v_add_f64 v[116:117], v[116:117], -v[118:119]
	v_mul_f64 v[118:119], v[242:243], s[24:25]
	v_add_f64 v[122:123], v[124:125], v[122:123]
	v_mul_f64 v[124:125], v[68:69], s[12:13]
	s_waitcnt vmcnt(54)
	v_add_f64 v[132:133], v[132:133], -v[134:135]
	v_mul_f64 v[134:135], v[64:65], s[12:13]
	v_add_f64 v[12:13], v[12:13], v[116:117]
	v_add_f64 v[62:63], v[62:63], v[118:119]
	v_mul_f64 v[118:119], v[226:227], s[4:5]
	v_add_f64 v[124:125], v[126:127], v[124:125]
	v_mul_f64 v[126:127], v[26:27], s[18:19]
	s_waitcnt vmcnt(52)
	v_add_f64 v[134:135], v[134:135], -v[136:137]
	v_mul_f64 v[136:137], v[24:25], s[18:19]
	v_add_f64 v[12:13], v[106:107], v[12:13]
	v_add_f64 v[34:35], v[34:35], v[118:119]
	;; [unrolled: 8-line block ×3, first 2 shown]
	v_add_f64 v[14:15], v[126:127], v[14:15]
	v_add_f64 v[60:61], v[128:129], -v[60:61]
	v_mul_f64 v[128:129], v[224:225], s[4:5]
	v_add_f64 v[16:17], v[16:17], v[136:137]
	s_waitcnt vmcnt(48)
	v_add_f64 v[138:139], v[140:141], v[138:139]
	v_mul_f64 v[140:141], v[232:233], s[4:5]
	v_add_f64 v[12:13], v[102:103], v[12:13]
	v_add_f64 v[14:15], v[124:125], v[14:15]
	v_add_f64 v[32:33], v[128:129], -v[32:33]
	v_mul_f64 v[128:129], v[48:49], s[20:21]
	v_add_f64 v[16:17], v[134:135], v[16:17]
	s_waitcnt vmcnt(46)
	v_add_f64 v[140:141], v[142:143], v[140:141]
	v_mul_f64 v[142:143], v[68:69], s[22:23]
	v_add_f64 v[12:13], v[100:101], v[12:13]
	v_add_f64 v[14:15], v[122:123], v[14:15]
	v_add_f64 v[128:129], v[128:129], -v[230:231]
	v_add_f64 v[16:17], v[132:133], v[16:17]
	s_waitcnt vmcnt(44)
	v_add_f64 v[142:143], v[144:145], v[142:143]
	v_mul_f64 v[144:145], v[26:27], s[14:15]
	v_add_f64 v[12:13], v[36:37], v[12:13]
	v_add_f64 v[36:37], v[112:113], v[6:7]
	;; [unrolled: 1-line block ×4, first 2 shown]
	s_waitcnt vmcnt(42)
	v_add_f64 v[144:145], v[146:147], v[144:145]
	v_mul_f64 v[146:147], v[176:177], s[16:17]
	v_add_f64 v[14:15], v[118:119], v[14:15]
	v_add_f64 v[16:17], v[128:129], v[16:17]
	;; [unrolled: 1-line block ×3, first 2 shown]
	s_waitcnt vmcnt(40)
	v_add_f64 v[146:147], v[146:147], -v[148:149]
	v_mul_f64 v[148:149], v[228:229], s[4:5]
	v_add_f64 v[14:15], v[34:35], v[14:15]
	v_add_f64 v[18:19], v[142:143], v[18:19]
	s_waitcnt vmcnt(38)
	v_add_f64 v[148:149], v[148:149], -v[150:151]
	v_mul_f64 v[150:151], v[64:65], s[22:23]
	v_add_f64 v[6:7], v[62:63], v[14:15]
	v_add_f64 v[18:19], v[140:141], v[18:19]
	s_waitcnt vmcnt(36)
	v_add_f64 v[150:151], v[150:151], -v[152:153]
	v_mul_f64 v[152:153], v[24:25], s[14:15]
	v_add_f64 v[18:19], v[138:139], v[18:19]
	s_waitcnt vmcnt(34)
	v_add_f64 v[152:153], v[152:153], -v[154:155]
	v_mul_f64 v[154:155], v[178:179], s[12:13]
	v_add_f64 v[70:71], v[70:71], v[152:153]
	s_waitcnt vmcnt(32)
	v_add_f64 v[154:155], v[156:157], v[154:155]
	v_mul_f64 v[156:157], v[232:233], s[22:23]
	s_waitcnt vmcnt(30)
	v_add_f64 v[156:157], v[158:159], v[156:157]
	v_mul_f64 v[158:159], v[68:69], s[14:15]
	;; [unrolled: 3-line block ×4, first 2 shown]
	v_add_f64 v[72:73], v[160:161], v[72:73]
	s_waitcnt vmcnt(24)
	v_add_f64 v[162:163], v[162:163], -v[164:165]
	v_mul_f64 v[164:165], v[228:229], s[22:23]
	s_waitcnt vmcnt(22)
	v_add_f64 v[164:165], v[164:165], -v[166:167]
	v_mul_f64 v[166:167], v[64:65], s[14:15]
	;; [unrolled: 3-line block ×4, first 2 shown]
	v_mul_f64 v[178:179], v[178:179], s[22:23]
	v_add_f64 v[74:75], v[74:75], v[168:169]
	s_waitcnt vmcnt(16)
	v_add_f64 v[170:171], v[172:173], v[170:171]
	v_mul_f64 v[172:173], v[232:233], s[14:15]
	s_waitcnt vmcnt(14)
	v_add_f64 v[172:173], v[174:175], v[172:173]
	v_mul_f64 v[174:175], v[68:69], s[24:25]
	v_mul_f64 v[68:69], v[68:69], s[16:17]
	s_waitcnt vmcnt(12)
	v_add_f64 v[174:175], v[180:181], v[174:175]
	v_mul_f64 v[180:181], v[26:27], s[20:21]
	;; [unrolled: 4-line block ×3, first 2 shown]
	v_mul_f64 v[176:177], v[176:177], s[22:23]
	v_add_f64 v[76:77], v[180:181], v[76:77]
	s_waitcnt vmcnt(8)
	v_add_f64 v[182:183], v[182:183], -v[184:185]
	v_mul_f64 v[184:185], v[228:229], s[14:15]
	s_waitcnt vmcnt(6)
	v_add_f64 v[184:185], v[184:185], -v[186:187]
	v_mul_f64 v[186:187], v[64:65], s[24:25]
	v_mul_f64 v[64:65], v[64:65], s[16:17]
	s_waitcnt vmcnt(4)
	v_add_f64 v[186:187], v[186:187], -v[188:189]
	v_mul_f64 v[188:189], v[24:25], s[20:21]
	;; [unrolled: 4-line block ×3, first 2 shown]
	v_add_f64 v[88:89], v[88:89], v[188:189]
	s_waitcnt vmcnt(0)
	v_add_f64 v[190:191], v[192:193], v[190:191]
	s_clause 0x1
	buffer_load_dword v192, off, s[60:63], 0 offset:940
	buffer_load_dword v193, off, s[60:63], 0 offset:944
	s_waitcnt vmcnt(0)
	v_add_f64 v[68:69], v[192:193], v[68:69]
	s_clause 0x3
	buffer_load_dword v192, off, s[60:63], 0 offset:788
	buffer_load_dword v193, off, s[60:63], 0 offset:792
	;; [unrolled: 1-line block ×4, first 2 shown]
	s_waitcnt vmcnt(2)
	v_add_f64 v[26:27], v[192:193], v[26:27]
	v_mul_f64 v[192:193], v[228:229], s[20:21]
	v_add_f64 v[22:23], v[26:27], v[22:23]
	s_waitcnt vmcnt(0)
	v_add_f64 v[192:193], v[192:193], -v[194:195]
	s_clause 0x1
	buffer_load_dword v194, off, s[60:63], 0 offset:772
	buffer_load_dword v195, off, s[60:63], 0 offset:776
	v_add_f64 v[26:27], v[150:151], v[70:71]
	v_add_f64 v[70:71], v[166:167], v[74:75]
	;; [unrolled: 1-line block ×11, first 2 shown]
	s_waitcnt vmcnt(0)
	v_add_f64 v[24:25], v[24:25], -v[194:195]
	s_clause 0x1
	buffer_load_dword v194, off, s[60:63], 0 offset:932
	buffer_load_dword v195, off, s[60:63], 0 offset:936
	v_add_f64 v[20:21], v[20:21], v[24:25]
	v_mul_f64 v[24:25], v[240:241], s[12:13]
	v_add_f64 v[24:25], v[24:25], -v[56:57]
	v_add_f64 v[56:57], v[158:159], v[72:73]
	v_add_f64 v[72:73], v[174:175], v[76:77]
	;; [unrolled: 1-line block ×4, first 2 shown]
	s_waitcnt vmcnt(0)
	v_add_f64 v[64:65], v[64:65], -v[194:195]
	s_clause 0x1
	buffer_load_dword v194, off, s[60:63], 0 offset:1132
	buffer_load_dword v195, off, s[60:63], 0 offset:1136
	v_add_f64 v[20:21], v[64:65], v[20:21]
	v_mul_f64 v[64:65], v[242:243], s[18:19]
	v_add_f64 v[20:21], v[192:193], v[20:21]
	v_add_f64 v[54:55], v[54:55], v[64:65]
	;; [unrolled: 1-line block ×3, first 2 shown]
	v_mul_f64 v[72:73], v[240:241], s[18:19]
	v_add_f64 v[64:65], v[170:171], v[64:65]
	v_add_f64 v[52:53], v[72:73], -v[52:53]
	v_mul_f64 v[72:73], v[242:243], s[4:5]
	v_add_f64 v[46:47], v[46:47], v[72:73]
	s_waitcnt vmcnt(0)
	v_add_f64 v[178:179], v[194:195], v[178:179]
	s_clause 0x1
	buffer_load_dword v194, off, s[60:63], 0 offset:1124
	buffer_load_dword v195, off, s[60:63], 0 offset:1128
	v_add_f64 v[22:23], v[178:179], v[22:23]
	s_waitcnt vmcnt(0)
	v_add_f64 v[176:177], v[176:177], -v[194:195]
	v_mul_f64 v[194:195], v[50:51], s[18:19]
	v_add_f64 v[20:21], v[176:177], v[20:21]
	v_add_f64 v[86:87], v[86:87], v[194:195]
	v_mul_f64 v[194:195], v[48:49], s[18:19]
	v_add_f64 v[18:19], v[86:87], v[18:19]
	v_add_f64 v[84:85], v[194:195], -v[84:85]
	v_mul_f64 v[194:195], v[50:51], s[4:5]
	v_add_f64 v[26:27], v[84:85], v[26:27]
	v_add_f64 v[4:5], v[4:5], v[194:195]
	v_mul_f64 v[194:195], v[48:49], s[4:5]
	v_add_f64 v[4:5], v[4:5], v[56:57]
	v_add_f64 v[109:110], v[194:195], -v[109:110]
	v_mul_f64 v[194:195], v[50:51], s[22:23]
	v_mul_f64 v[50:51], v[50:51], s[24:25]
	v_add_f64 v[78:79], v[78:79], v[194:195]
	v_mul_f64 v[194:195], v[48:49], s[22:23]
	v_mul_f64 v[48:49], v[48:49], s[24:25]
	v_add_f64 v[50:51], v[212:213], v[50:51]
	v_add_f64 v[56:57], v[78:79], v[64:65]
	v_add_f64 v[8:9], v[194:195], -v[8:9]
	s_clause 0x1
	buffer_load_dword v194, off, s[60:63], 0 offset:1220
	buffer_load_dword v195, off, s[60:63], 0 offset:1224
	v_add_f64 v[22:23], v[50:51], v[22:23]
	v_mul_f64 v[50:51], v[240:241], s[4:5]
	v_add_f64 v[8:9], v[8:9], v[68:69]
	v_add_f64 v[22:23], v[202:203], v[22:23]
	v_add_f64 v[44:45], v[50:51], -v[44:45]
	v_mul_f64 v[50:51], v[242:243], s[14:15]
	v_add_f64 v[8:9], v[200:201], v[8:9]
	v_add_f64 v[40:41], v[40:41], v[50:51]
	v_mul_f64 v[50:51], v[240:241], s[14:15]
	v_add_f64 v[22:23], v[40:41], v[22:23]
	v_add_f64 v[38:39], v[50:51], -v[38:39]
	s_waitcnt vmcnt(0)
	v_add_f64 v[48:49], v[48:49], -v[194:195]
	v_mul_f64 v[194:195], v[226:227], s[24:25]
	v_add_f64 v[20:21], v[48:49], v[20:21]
	v_add_f64 v[30:31], v[30:31], v[194:195]
	v_mul_f64 v[194:195], v[224:225], s[24:25]
	v_add_f64 v[48:49], v[109:110], v[70:71]
	v_add_f64 v[20:21], v[204:205], v[20:21]
	;; [unrolled: 1-line block ×3, first 2 shown]
	v_add_f64 v[28:29], v[194:195], -v[28:29]
	v_mul_f64 v[194:195], v[226:227], s[20:21]
	v_add_f64 v[30:31], v[198:199], v[56:57]
	v_add_f64 v[34:35], v[196:197], v[48:49]
	;; [unrolled: 1-line block ×18, first 2 shown]
	s_clause 0x4
	buffer_load_dword v28, off, s[60:63], 0 offset:496
	buffer_load_dword v29, off, s[60:63], 0 offset:100
	;; [unrolled: 1-line block ×5, first 2 shown]
	s_waitcnt vmcnt(4)
	v_lshl_add_u32 v28, v28, 4, v208
	s_waitcnt vmcnt(0)
	ds_write_b128 v28, v[29:32] offset:112
	s_clause 0x3
	buffer_load_dword v29, off, s[60:63], 0 offset:132
	buffer_load_dword v30, off, s[60:63], 0 offset:136
	buffer_load_dword v31, off, s[60:63], 0 offset:140
	buffer_load_dword v32, off, s[60:63], 0 offset:144
	s_waitcnt vmcnt(0)
	ds_write_b128 v28, v[29:32] offset:128
	s_clause 0x3
	buffer_load_dword v29, off, s[60:63], 0 offset:148
	buffer_load_dword v30, off, s[60:63], 0 offset:152
	buffer_load_dword v31, off, s[60:63], 0 offset:156
	buffer_load_dword v32, off, s[60:63], 0 offset:160
	;; [unrolled: 7-line block ×8, first 2 shown]
	s_waitcnt vmcnt(0)
	ds_write_b128 v28, v[29:32] offset:240
	ds_write_b128 v28, v[20:23] offset:16
	;; [unrolled: 1-line block ×7, first 2 shown]
	ds_write_b128 v28, v[24:27]
	s_clause 0x3
	buffer_load_dword v0, off, s[60:63], 0 offset:4
	buffer_load_dword v1, off, s[60:63], 0 offset:8
	;; [unrolled: 1-line block ×4, first 2 shown]
	s_waitcnt vmcnt(0)
	ds_write_b128 v28, v[0:3] offset:256
.LBB0_7:
	s_or_b32 exec_lo, exec_lo, s26
	v_add_nc_u16 v0, v214, 34
	v_add_nc_u16 v2, v214, 51
	v_add_nc_u16 v5, v214, 0x44
	v_lshlrev_b32_e32 v4, 5, v214
	s_waitcnt lgkmcnt(0)
	s_waitcnt_vscnt null, 0x0
	v_and_b32_e32 v1, 0xff, v0
	v_and_b32_e32 v3, 0xff, v2
	s_barrier
	buffer_gl0_inv
	s_clause 0x1
	global_load_dwordx4 v[168:171], v4, s[0:1]
	global_load_dwordx4 v[152:155], v4, s[0:1] offset:16
	v_mul_lo_u16 v1, 0xf1, v1
	v_mul_lo_u16 v3, 0xf1, v3
	s_mov_b32 s4, 0xe8584caa
	s_mov_b32 s5, 0x3febb67a
	s_mov_b32 s13, 0xbfebb67a
	v_lshrrev_b16 v1, 12, v1
	v_lshrrev_b16 v3, 12, v3
	s_mov_b32 s12, s4
	v_mul_lo_u16 v1, v1, 17
	v_sub_nc_u16 v16, v0, v1
	v_mul_lo_u16 v0, v3, 17
	v_and_b32_e32 v1, 0xff, v5
	v_lshlrev_b16 v3, 1, v16
	v_sub_nc_u16 v17, v2, v0
	v_mul_lo_u16 v0, 0xf1, v1
	v_and_b32_e32 v16, 0xff, v16
	v_and_b32_e32 v1, 0xfe, v3
	v_add_nc_u16 v3, v214, 0x55
	v_lshrrev_b16 v0, 12, v0
	v_lshlrev_b16 v2, 1, v17
	v_lshl_add_u32 v110, v16, 4, v208
	v_lshlrev_b32_e32 v1, 4, v1
	v_mul_lo_u16 v0, v0, 17
	v_and_b32_e32 v2, 0xfe, v2
	s_clause 0x1
	global_load_dwordx4 v[103:106], v1, s[0:1]
	global_load_dwordx4 v[67:70], v1, s[0:1] offset:16
	v_and_b32_e32 v1, 0xff, v3
	v_sub_nc_u16 v18, v5, v0
	v_lshlrev_b32_e32 v2, 4, v2
	v_mul_lo_u16 v0, 0xf1, v1
	v_lshlrev_b16 v1, 1, v18
	s_clause 0x1
	global_load_dwordx4 v[99:102], v2, s[0:1]
	global_load_dwordx4 v[71:74], v2, s[0:1] offset:16
	v_lshrrev_b16 v0, 12, v0
	v_and_b32_e32 v1, 0xfe, v1
	v_mul_lo_u16 v0, v0, 17
	v_lshlrev_b32_e32 v1, 4, v1
	v_sub_nc_u16 v19, v3, v0
	v_add_nc_u16 v0, v214, 0x66
	s_clause 0x1
	global_load_dwordx4 v[75:78], v1, s[0:1]
	global_load_dwordx4 v[79:82], v1, s[0:1] offset:16
	v_lshlrev_b16 v1, 1, v19
	v_and_b32_e32 v2, 0xff, v0
	v_and_b32_e32 v1, 0xfe, v1
	v_mul_lo_u16 v2, 0xf1, v2
	v_lshlrev_b32_e32 v1, 4, v1
	v_lshrrev_b16 v2, 12, v2
	s_clause 0x1
	global_load_dwordx4 v[83:86], v1, s[0:1]
	global_load_dwordx4 v[87:90], v1, s[0:1] offset:16
	v_mul_lo_u16 v1, v2, 17
	v_sub_nc_u16 v20, v0, v1
	v_lshlrev_b16 v0, 1, v20
	v_and_b32_e32 v0, 0xfe, v0
	v_lshlrev_b32_e32 v0, 4, v0
	s_clause 0x1
	global_load_dwordx4 v[91:94], v0, s[0:1]
	global_load_dwordx4 v[95:98], v0, s[0:1] offset:16
	ds_read_b128 v[12:15], v108 offset:2176
	ds_read_b128 v[8:11], v108 offset:4352
	;; [unrolled: 1-line block ×9, first 2 shown]
	s_waitcnt vmcnt(11) lgkmcnt(8)
	v_mul_f64 v[41:42], v[14:15], v[170:171]
	v_mul_f64 v[43:44], v[12:13], v[170:171]
	s_waitcnt lgkmcnt(6)
	v_mul_f64 v[49:50], v[6:7], v[170:171]
	v_mul_f64 v[51:52], v[4:5], v[170:171]
	s_waitcnt vmcnt(10) lgkmcnt(5)
	v_mul_f64 v[53:54], v[2:3], v[154:155]
	v_mul_f64 v[55:56], v[0:1], v[154:155]
	;; [unrolled: 1-line block ×4, first 2 shown]
	v_fma_f64 v[41:42], v[12:13], v[168:169], -v[41:42]
	v_fma_f64 v[43:44], v[14:15], v[168:169], v[43:44]
	ds_read_b128 v[12:15], v108 offset:3264
	v_fma_f64 v[49:50], v[4:5], v[168:169], -v[49:50]
	v_fma_f64 v[51:52], v[6:7], v[168:169], v[51:52]
	ds_read_b128 v[4:7], v108 offset:3536
	;; [unrolled: 3-line block ×3, first 2 shown]
	v_fma_f64 v[45:46], v[8:9], v[152:153], -v[45:46]
	v_fma_f64 v[47:48], v[10:11], v[152:153], v[47:48]
	s_waitcnt vmcnt(9) lgkmcnt(7)
	v_mul_f64 v[57:58], v[23:24], v[105:106]
	s_waitcnt vmcnt(8) lgkmcnt(6)
	v_mul_f64 v[61:62], v[27:28], v[69:70]
	v_mul_f64 v[59:60], v[21:22], v[105:106]
	v_mul_f64 v[63:64], v[25:26], v[69:70]
	s_waitcnt vmcnt(7) lgkmcnt(5)
	v_mul_f64 v[8:9], v[31:32], v[101:102]
	s_waitcnt vmcnt(6) lgkmcnt(4)
	v_mul_f64 v[65:66], v[35:36], v[73:74]
	v_mul_f64 v[10:11], v[29:30], v[101:102]
	v_fma_f64 v[57:58], v[21:22], v[103:104], -v[57:58]
	buffer_store_dword v103, off, s[60:63], 0 offset:708 ; 4-byte Folded Spill
	buffer_store_dword v104, off, s[60:63], 0 offset:712 ; 4-byte Folded Spill
	;; [unrolled: 1-line block ×4, first 2 shown]
	v_fma_f64 v[61:62], v[25:26], v[67:68], -v[61:62]
	buffer_store_dword v67, off, s[60:63], 0 offset:660 ; 4-byte Folded Spill
	buffer_store_dword v68, off, s[60:63], 0 offset:664 ; 4-byte Folded Spill
	;; [unrolled: 1-line block ×4, first 2 shown]
	v_mul_f64 v[21:22], v[33:34], v[73:74]
	s_waitcnt vmcnt(5) lgkmcnt(2)
	v_mul_f64 v[25:26], v[12:13], v[77:78]
	v_fma_f64 v[65:66], v[33:34], v[71:72], -v[65:66]
	v_add_f64 v[33:34], v[49:50], -v[53:54]
	v_fma_f64 v[59:60], v[23:24], v[103:104], v[59:60]
	v_mul_f64 v[23:24], v[14:15], v[77:78]
	v_fma_f64 v[63:64], v[27:28], v[67:68], v[63:64]
	s_waitcnt vmcnt(4)
	v_mul_f64 v[27:28], v[39:40], v[81:82]
	v_fma_f64 v[67:68], v[29:30], v[99:100], -v[8:9]
	buffer_store_dword v99, off, s[60:63], 0 offset:692 ; 4-byte Folded Spill
	buffer_store_dword v100, off, s[60:63], 0 offset:696 ; 4-byte Folded Spill
	;; [unrolled: 1-line block ×8, first 2 shown]
	v_mul_f64 v[8:9], v[37:38], v[81:82]
	s_waitcnt vmcnt(3) lgkmcnt(1)
	v_mul_f64 v[29:30], v[6:7], v[85:86]
	v_fma_f64 v[73:74], v[12:13], v[75:76], -v[23:24]
	buffer_store_dword v75, off, s[60:63], 0 offset:644 ; 4-byte Folded Spill
	buffer_store_dword v76, off, s[60:63], 0 offset:648 ; 4-byte Folded Spill
	;; [unrolled: 1-line block ×4, first 2 shown]
	v_fma_f64 v[77:78], v[37:38], v[79:80], -v[27:28]
	buffer_store_dword v79, off, s[60:63], 0 offset:612 ; 4-byte Folded Spill
	buffer_store_dword v80, off, s[60:63], 0 offset:616 ; 4-byte Folded Spill
	;; [unrolled: 1-line block ×4, first 2 shown]
	s_waitcnt vmcnt(2) lgkmcnt(0)
	v_mul_f64 v[12:13], v[0:1], v[89:90]
	v_fma_f64 v[81:82], v[4:5], v[83:84], -v[29:30]
	v_add_f64 v[29:30], v[51:52], -v[55:56]
	v_fma_f64 v[69:70], v[31:32], v[99:100], v[10:11]
	v_fma_f64 v[71:72], v[35:36], v[71:72], v[21:22]
	v_mul_f64 v[21:22], v[4:5], v[85:86]
	v_mul_f64 v[31:32], v[2:3], v[89:90]
	v_fma_f64 v[75:76], v[14:15], v[75:76], v[25:26]
	v_add_f64 v[25:26], v[41:42], -v[45:46]
	v_fma_f64 v[79:80], v[39:40], v[79:80], v[8:9]
	ds_read_b128 v[8:11], v108 offset:3808
	buffer_store_dword v83, off, s[60:63], 0 offset:628 ; 4-byte Folded Spill
	buffer_store_dword v84, off, s[60:63], 0 offset:632 ; 4-byte Folded Spill
	;; [unrolled: 1-line block ×4, first 2 shown]
	v_fma_f64 v[85:86], v[0:1], v[87:88], -v[31:32]
	s_waitcnt vmcnt(1) lgkmcnt(0)
	v_mul_f64 v[14:15], v[10:11], v[93:94]
	v_mul_f64 v[0:1], v[8:9], v[93:94]
	v_fma_f64 v[83:84], v[6:7], v[83:84], v[21:22]
	ds_read_b128 v[4:7], v108 offset:4080
	buffer_store_dword v87, off, s[60:63], 0 offset:596 ; 4-byte Folded Spill
	buffer_store_dword v88, off, s[60:63], 0 offset:600 ; 4-byte Folded Spill
	;; [unrolled: 1-line block ×4, first 2 shown]
	v_fma_f64 v[89:90], v[8:9], v[91:92], -v[14:15]
	buffer_store_dword v91, off, s[60:63], 0 offset:580 ; 4-byte Folded Spill
	buffer_store_dword v92, off, s[60:63], 0 offset:584 ; 4-byte Folded Spill
	;; [unrolled: 1-line block ×4, first 2 shown]
	v_add_f64 v[21:22], v[43:44], -v[47:48]
	v_fma_f64 v[87:88], v[2:3], v[87:88], v[12:13]
	v_fma_f64 v[91:92], v[10:11], v[91:92], v[0:1]
	ds_read_b128 v[0:3], v108 offset:5984
	ds_read_b128 v[8:11], v108 offset:6256
	s_waitcnt vmcnt(0) lgkmcnt(1)
	v_mul_f64 v[12:13], v[2:3], v[97:98]
	v_fma_f64 v[93:94], v[0:1], v[95:96], -v[12:13]
	v_mul_f64 v[0:1], v[0:1], v[97:98]
	buffer_store_dword v95, off, s[60:63], 0 offset:564 ; 4-byte Folded Spill
	buffer_store_dword v96, off, s[60:63], 0 offset:568 ; 4-byte Folded Spill
	buffer_store_dword v97, off, s[60:63], 0 offset:572 ; 4-byte Folded Spill
	buffer_store_dword v98, off, s[60:63], 0 offset:576 ; 4-byte Folded Spill
	v_add_f64 v[12:13], v[41:42], v[45:46]
	v_fma_f64 v[95:96], v[2:3], v[95:96], v[0:1]
	v_add_nc_u16 v0, v214, 0x77
	v_and_b32_e32 v1, 0xff, v0
	v_mul_lo_u16 v1, 0xf1, v1
	v_lshrrev_b16 v1, 12, v1
	v_mul_lo_u16 v1, v1, 17
	v_sub_nc_u16 v105, v0, v1
	v_lshlrev_b16 v0, 1, v105
	v_and_b32_e32 v0, 0xfe, v0
	v_lshlrev_b32_e32 v0, 4, v0
	s_clause 0x1
	global_load_dwordx4 v[244:247], v0, s[0:1]
	global_load_dwordx4 v[240:243], v0, s[0:1] offset:16
	s_waitcnt vmcnt(1)
	v_mul_f64 v[0:1], v[6:7], v[246:247]
	v_fma_f64 v[97:98], v[4:5], v[244:245], -v[0:1]
	v_mul_f64 v[0:1], v[4:5], v[246:247]
	v_fma_f64 v[99:100], v[6:7], v[244:245], v[0:1]
	ds_read_b128 v[0:3], v108
	ds_read_b128 v[4:7], v108 offset:272
	s_waitcnt lgkmcnt(1)
	v_fma_f64 v[14:15], v[12:13], -0.5, v[0:1]
	v_add_f64 v[12:13], v[43:44], v[47:48]
	v_add_f64 v[0:1], v[0:1], v[41:42]
	v_fma_f64 v[23:24], v[12:13], -0.5, v[2:3]
	v_fma_f64 v[12:13], v[21:22], s[4:5], v[14:15]
	v_fma_f64 v[21:22], v[21:22], s[12:13], v[14:15]
	v_add_f64 v[2:3], v[2:3], v[43:44]
	v_add_f64 v[0:1], v[0:1], v[45:46]
	v_fma_f64 v[14:15], v[25:26], s[12:13], v[23:24]
	v_fma_f64 v[23:24], v[25:26], s[4:5], v[23:24]
	v_add_f64 v[25:26], v[49:50], v[53:54]
	v_add_f64 v[2:3], v[2:3], v[47:48]
	s_waitcnt lgkmcnt(0)
	v_fma_f64 v[27:28], v[25:26], -0.5, v[4:5]
	v_add_f64 v[25:26], v[51:52], v[55:56]
	v_add_f64 v[4:5], v[4:5], v[49:50]
	v_fma_f64 v[31:32], v[25:26], -0.5, v[6:7]
	v_fma_f64 v[25:26], v[29:30], s[4:5], v[27:28]
	v_fma_f64 v[29:30], v[29:30], s[12:13], v[27:28]
	v_add_f64 v[6:7], v[6:7], v[51:52]
	v_add_f64 v[4:5], v[4:5], v[53:54]
	v_fma_f64 v[27:28], v[33:34], s[12:13], v[31:32]
	v_fma_f64 v[31:32], v[33:34], s[4:5], v[31:32]
	s_waitcnt vmcnt(0)
	v_mul_f64 v[33:34], v[10:11], v[242:243]
	v_add_f64 v[6:7], v[6:7], v[55:56]
	v_fma_f64 v[101:102], v[8:9], v[240:241], -v[33:34]
	v_mul_f64 v[8:9], v[8:9], v[242:243]
	v_fma_f64 v[103:104], v[10:11], v[240:241], v[8:9]
	ds_read_b128 v[8:11], v108 offset:544
	ds_read_b128 v[33:36], v108 offset:816
	;; [unrolled: 1-line block ×6, first 2 shown]
	s_waitcnt lgkmcnt(0)
	s_waitcnt_vscnt null, 0x0
	s_barrier
	buffer_gl0_inv
	ds_write_b128 v108, v[0:3]
	ds_write_b128 v108, v[4:7] offset:816
	ds_write_b128 v108, v[12:15] offset:272
	;; [unrolled: 1-line block ×5, first 2 shown]
	v_add_f64 v[0:1], v[57:58], v[61:62]
	v_add_f64 v[25:26], v[69:70], -v[71:72]
	v_add_f64 v[29:30], v[67:68], -v[65:66]
	v_add_f64 v[4:5], v[8:9], v[57:58]
	v_add_f64 v[21:22], v[33:34], v[67:68]
	v_fma_f64 v[6:7], v[0:1], -0.5, v[8:9]
	v_add_f64 v[0:1], v[59:60], v[63:64]
	v_add_f64 v[8:9], v[59:60], -v[63:64]
	v_fma_f64 v[12:13], v[0:1], -0.5, v[10:11]
	v_add_f64 v[0:1], v[10:11], v[59:60]
	v_add_f64 v[10:11], v[57:58], -v[61:62]
	v_add_f64 v[57:58], v[83:84], -v[87:88]
	v_add_f64 v[2:3], v[0:1], v[63:64]
	v_add_f64 v[0:1], v[4:5], v[61:62]
	v_fma_f64 v[4:5], v[8:9], s[4:5], v[6:7]
	v_fma_f64 v[8:9], v[8:9], s[12:13], v[6:7]
	;; [unrolled: 1-line block ×4, first 2 shown]
	v_add_f64 v[12:13], v[67:68], v[65:66]
	v_add_f64 v[61:62], v[81:82], -v[85:86]
	ds_write_b128 v110, v[0:3] offset:1632
	v_and_b32_e32 v0, 0xff, v17
	v_fma_f64 v[23:24], v[12:13], -0.5, v[33:34]
	v_add_f64 v[12:13], v[69:70], v[71:72]
	v_add_f64 v[33:34], v[37:38], v[73:74]
	v_lshl_add_u32 v16, v0, 4, v208
	v_and_b32_e32 v0, 0xff, v18
	v_fma_f64 v[27:28], v[12:13], -0.5, v[35:36]
	v_add_f64 v[12:13], v[35:36], v[69:70]
	v_add_f64 v[69:70], v[89:90], -v[93:94]
	v_add_f64 v[14:15], v[12:13], v[71:72]
	v_add_f64 v[12:13], v[21:22], v[65:66]
	v_fma_f64 v[21:22], v[25:26], s[4:5], v[23:24]
	v_fma_f64 v[25:26], v[25:26], s[12:13], v[23:24]
	;; [unrolled: 1-line block ×4, first 2 shown]
	v_add_f64 v[29:30], v[73:74], v[77:78]
	v_add_f64 v[65:66], v[91:92], -v[95:96]
	ds_write_b128 v16, v[12:15] offset:2448
	v_lshl_add_u32 v13, v0, 4, v208
	v_and_b32_e32 v0, 0xff, v19
	v_fma_f64 v[35:36], v[29:30], -0.5, v[37:38]
	v_add_f64 v[29:30], v[75:76], v[79:80]
	v_add_f64 v[37:38], v[75:76], -v[79:80]
	v_lshl_add_u32 v12, v0, 4, v208
	v_and_b32_e32 v0, 0xff, v20
	v_lshl_add_u32 v3, v0, 4, v208
	v_and_b32_e32 v0, 0xff, v105
	v_lshl_add_u32 v2, v0, 4, v208
	v_mad_u64_u32 v[0:1], null, 0x70, v214, s[0:1]
	v_fma_f64 v[53:54], v[29:30], -0.5, v[39:40]
	v_add_f64 v[29:30], v[39:40], v[75:76]
	v_add_f64 v[39:40], v[73:74], -v[77:78]
	v_add_f64 v[73:74], v[99:100], -v[103:104]
	v_add_f64 v[31:32], v[29:30], v[79:80]
	v_add_f64 v[29:30], v[33:34], v[77:78]
	v_fma_f64 v[33:34], v[37:38], s[4:5], v[35:36]
	v_fma_f64 v[37:38], v[37:38], s[12:13], v[35:36]
	;; [unrolled: 1-line block ×4, first 2 shown]
	v_add_f64 v[53:54], v[81:82], v[85:86]
	v_add_f64 v[77:78], v[97:98], -v[101:102]
	ds_write_b128 v13, v[29:32] offset:3264
	v_fma_f64 v[55:56], v[53:54], -0.5, v[41:42]
	v_add_f64 v[53:54], v[83:84], v[87:88]
	v_add_f64 v[41:42], v[41:42], v[81:82]
	v_fma_f64 v[59:60], v[53:54], -0.5, v[43:44]
	v_fma_f64 v[53:54], v[57:58], s[4:5], v[55:56]
	v_fma_f64 v[57:58], v[57:58], s[12:13], v[55:56]
	v_add_f64 v[43:44], v[43:44], v[83:84]
	v_add_f64 v[41:42], v[41:42], v[85:86]
	v_fma_f64 v[55:56], v[61:62], s[12:13], v[59:60]
	v_fma_f64 v[59:60], v[61:62], s[4:5], v[59:60]
	v_add_f64 v[61:62], v[89:90], v[93:94]
	v_add_f64 v[43:44], v[43:44], v[87:88]
	v_fma_f64 v[63:64], v[61:62], -0.5, v[45:46]
	v_add_f64 v[61:62], v[91:92], v[95:96]
	v_add_f64 v[45:46], v[45:46], v[89:90]
	ds_write_b128 v12, v[41:44] offset:4080
	v_fma_f64 v[67:68], v[61:62], -0.5, v[47:48]
	v_fma_f64 v[61:62], v[65:66], s[4:5], v[63:64]
	v_fma_f64 v[65:66], v[65:66], s[12:13], v[63:64]
	v_add_f64 v[47:48], v[47:48], v[91:92]
	v_add_f64 v[45:46], v[45:46], v[93:94]
	v_fma_f64 v[63:64], v[69:70], s[12:13], v[67:68]
	v_fma_f64 v[67:68], v[69:70], s[4:5], v[67:68]
	v_add_f64 v[69:70], v[97:98], v[101:102]
	v_add_f64 v[47:48], v[47:48], v[95:96]
	v_fma_f64 v[71:72], v[69:70], -0.5, v[49:50]
	v_add_f64 v[69:70], v[99:100], v[103:104]
	v_add_f64 v[49:50], v[49:50], v[97:98]
	ds_write_b128 v3, v[45:48] offset:4896
	v_fma_f64 v[75:76], v[69:70], -0.5, v[51:52]
	v_add_f64 v[51:52], v[51:52], v[99:100]
	v_add_f64 v[49:50], v[49:50], v[101:102]
	v_fma_f64 v[69:70], v[73:74], s[4:5], v[71:72]
	v_fma_f64 v[73:74], v[73:74], s[12:13], v[71:72]
	;; [unrolled: 1-line block ×3, first 2 shown]
	v_add_f64 v[51:52], v[51:52], v[103:104]
	v_fma_f64 v[75:76], v[77:78], s[4:5], v[75:76]
	ds_write_b128 v2, v[49:52] offset:5712
	ds_write_b128 v110, v[4:7] offset:1904
	ds_write_b128 v110, v[8:11] offset:2176
	ds_write_b128 v16, v[21:24] offset:2720
	buffer_store_dword v16, off, s[60:63], 0 offset:932 ; 4-byte Folded Spill
	ds_write_b128 v16, v[25:28] offset:2992
	ds_write_b128 v13, v[33:36] offset:3536
	buffer_store_dword v13, off, s[60:63], 0 offset:924 ; 4-byte Folded Spill
	ds_write_b128 v13, v[37:40] offset:3808
	ds_write_b128 v12, v[53:56] offset:4352
	;; [unrolled: 3-line block ×4, first 2 shown]
	buffer_store_dword v2, off, s[60:63], 0 offset:900 ; 4-byte Folded Spill
	ds_write_b128 v2, v[73:76] offset:6256
	s_waitcnt lgkmcnt(0)
	s_waitcnt_vscnt null, 0x0
	s_barrier
	buffer_gl0_inv
	s_clause 0x3
	global_load_dwordx4 v[40:43], v[0:1], off offset:544
	global_load_dwordx4 v[44:47], v[0:1], off offset:560
	;; [unrolled: 1-line block ×4, first 2 shown]
	ds_read_b128 v[2:5], v108 offset:816
	ds_read_b128 v[6:9], v108 offset:1632
	;; [unrolled: 1-line block ×6, first 2 shown]
	v_add_co_u32 v62, s0, 0x770, v0
	v_add_co_ci_u32_e64 v63, s0, 0, v1, s0
	s_mov_b32 s5, 0x3fe6a09e
	s_waitcnt vmcnt(3) lgkmcnt(5)
	v_mul_f64 v[26:27], v[4:5], v[42:43]
	v_mul_f64 v[28:29], v[2:3], v[42:43]
	s_waitcnt vmcnt(2) lgkmcnt(4)
	v_mul_f64 v[30:31], v[8:9], v[46:47]
	v_mul_f64 v[32:33], v[6:7], v[46:47]
	;; [unrolled: 3-line block ×3, first 2 shown]
	v_fma_f64 v[38:39], v[2:3], v[40:41], -v[26:27]
	buffer_store_dword v40, off, s[60:63], 0 offset:548 ; 4-byte Folded Spill
	buffer_store_dword v41, off, s[60:63], 0 offset:552 ; 4-byte Folded Spill
	;; [unrolled: 1-line block ×4, first 2 shown]
	v_fma_f64 v[42:43], v[6:7], v[44:45], -v[30:31]
	v_fma_f64 v[40:41], v[4:5], v[40:41], v[28:29]
	ds_read_b128 v[2:5], v108 offset:3264
	buffer_store_dword v44, off, s[60:63], 0 offset:532 ; 4-byte Folded Spill
	buffer_store_dword v45, off, s[60:63], 0 offset:536 ; 4-byte Folded Spill
	;; [unrolled: 1-line block ×4, first 2 shown]
	v_fma_f64 v[46:47], v[10:11], v[48:49], -v[34:35]
	s_waitcnt vmcnt(0) lgkmcnt(0)
	v_mul_f64 v[10:11], v[4:5], v[54:55]
	v_fma_f64 v[44:45], v[8:9], v[44:45], v[32:33]
	ds_read_b128 v[6:9], v108 offset:3536
	buffer_store_dword v48, off, s[60:63], 0 offset:500 ; 4-byte Folded Spill
	buffer_store_dword v49, off, s[60:63], 0 offset:504 ; 4-byte Folded Spill
	;; [unrolled: 1-line block ×4, first 2 shown]
	v_fma_f64 v[50:51], v[2:3], v[52:53], -v[10:11]
	v_fma_f64 v[48:49], v[12:13], v[48:49], v[36:37]
	v_mul_f64 v[12:13], v[2:3], v[54:55]
	buffer_store_dword v52, off, s[60:63], 0 offset:516 ; 4-byte Folded Spill
	buffer_store_dword v53, off, s[60:63], 0 offset:520 ; 4-byte Folded Spill
	;; [unrolled: 1-line block ×4, first 2 shown]
	s_clause 0x1
	global_load_dwordx4 v[28:31], v[0:1], off offset:608
	global_load_dwordx4 v[32:35], v[0:1], off offset:624
	v_fma_f64 v[52:53], v[4:5], v[52:53], v[12:13]
	ds_read_b128 v[2:5], v108 offset:4080
	ds_read_b128 v[10:13], v108 offset:3808
	s_waitcnt vmcnt(1) lgkmcnt(1)
	v_mul_f64 v[26:27], v[4:5], v[30:31]
	v_fma_f64 v[54:55], v[2:3], v[28:29], -v[26:27]
	v_mul_f64 v[2:3], v[2:3], v[30:31]
	buffer_store_dword v28, off, s[60:63], 0 offset:724 ; 4-byte Folded Spill
	buffer_store_dword v29, off, s[60:63], 0 offset:728 ; 4-byte Folded Spill
	;; [unrolled: 1-line block ×4, first 2 shown]
	v_add_f64 v[54:55], v[38:39], -v[54:55]
	v_fma_f64 v[38:39], v[38:39], 2.0, -v[54:55]
	v_fma_f64 v[56:57], v[4:5], v[28:29], v[2:3]
	ds_read_b128 v[2:5], v108 offset:4896
	ds_read_b128 v[26:29], v108 offset:5168
	s_waitcnt vmcnt(0) lgkmcnt(1)
	v_mul_f64 v[30:31], v[4:5], v[34:35]
	v_add_f64 v[56:57], v[40:41], -v[56:57]
	v_fma_f64 v[58:59], v[2:3], v[32:33], -v[30:31]
	v_mul_f64 v[2:3], v[2:3], v[34:35]
	buffer_store_dword v32, off, s[60:63], 0 offset:804 ; 4-byte Folded Spill
	buffer_store_dword v33, off, s[60:63], 0 offset:808 ; 4-byte Folded Spill
	;; [unrolled: 1-line block ×4, first 2 shown]
	s_clause 0x1
	global_load_dwordx4 v[66:69], v[0:1], off offset:640
	global_load_dwordx4 v[70:73], v[62:63], off offset:544
	v_add_co_u32 v0, s0, 0xee0, v0
	v_add_co_ci_u32_e64 v1, s0, 0, v1, s0
	s_mov_b32 s0, 0x667f3bcd
	s_mov_b32 s1, 0xbfe6a09e
	;; [unrolled: 1-line block ×3, first 2 shown]
	v_fma_f64 v[40:41], v[40:41], 2.0, -v[56:57]
	v_fma_f64 v[60:61], v[4:5], v[32:33], v[2:3]
	ds_read_b128 v[2:5], v108 offset:5712
	ds_read_b128 v[30:33], v108 offset:5440
	s_waitcnt vmcnt(1) lgkmcnt(1)
	v_mul_f64 v[34:35], v[4:5], v[68:69]
	v_fma_f64 v[64:65], v[2:3], v[66:67], -v[34:35]
	v_mul_f64 v[2:3], v[2:3], v[68:69]
	buffer_store_dword v66, off, s[60:63], 0 offset:772 ; 4-byte Folded Spill
	buffer_store_dword v67, off, s[60:63], 0 offset:776 ; 4-byte Folded Spill
	;; [unrolled: 1-line block ×4, first 2 shown]
	v_add_f64 v[64:65], v[46:47], -v[64:65]
	v_fma_f64 v[66:67], v[4:5], v[66:67], v[2:3]
	ds_read_b128 v[2:5], v108 offset:1088
	ds_read_b128 v[34:37], v108 offset:1360
	s_waitcnt vmcnt(0) lgkmcnt(1)
	v_mul_f64 v[68:69], v[4:5], v[72:73]
	v_fma_f64 v[68:69], v[2:3], v[70:71], -v[68:69]
	v_mul_f64 v[2:3], v[2:3], v[72:73]
	buffer_store_dword v70, off, s[60:63], 0 offset:740 ; 4-byte Folded Spill
	buffer_store_dword v71, off, s[60:63], 0 offset:744 ; 4-byte Folded Spill
	;; [unrolled: 1-line block ×4, first 2 shown]
	s_clause 0x1
	global_load_dwordx4 v[74:77], v[62:63], off offset:560
	global_load_dwordx4 v[78:81], v[62:63], off offset:576
	v_fma_f64 v[70:71], v[4:5], v[70:71], v[2:3]
	s_waitcnt vmcnt(1)
	v_mul_f64 v[2:3], v[20:21], v[76:77]
	v_fma_f64 v[72:73], v[18:19], v[74:75], -v[2:3]
	v_mul_f64 v[2:3], v[18:19], v[76:77]
	buffer_store_dword v74, off, s[60:63], 0 offset:836 ; 4-byte Folded Spill
	buffer_store_dword v75, off, s[60:63], 0 offset:840 ; 4-byte Folded Spill
	;; [unrolled: 1-line block ×4, first 2 shown]
	v_fma_f64 v[74:75], v[20:21], v[74:75], v[2:3]
	ds_read_b128 v[2:5], v108 offset:2720
	ds_read_b128 v[18:21], v108 offset:2992
	s_waitcnt vmcnt(0) lgkmcnt(1)
	v_mul_f64 v[76:77], v[4:5], v[80:81]
	v_fma_f64 v[76:77], v[2:3], v[78:79], -v[76:77]
	v_mul_f64 v[2:3], v[2:3], v[80:81]
	buffer_store_dword v78, off, s[60:63], 0 offset:756 ; 4-byte Folded Spill
	buffer_store_dword v79, off, s[60:63], 0 offset:760 ; 4-byte Folded Spill
	;; [unrolled: 1-line block ×4, first 2 shown]
	s_clause 0x1
	global_load_dwordx4 v[82:85], v[62:63], off offset:592
	global_load_dwordx4 v[86:89], v[62:63], off offset:608
	v_fma_f64 v[78:79], v[4:5], v[78:79], v[2:3]
	s_waitcnt vmcnt(1)
	v_mul_f64 v[2:3], v[8:9], v[84:85]
	v_fma_f64 v[80:81], v[6:7], v[82:83], -v[2:3]
	v_mul_f64 v[2:3], v[6:7], v[84:85]
	buffer_store_dword v82, off, s[60:63], 0 offset:852 ; 4-byte Folded Spill
	buffer_store_dword v83, off, s[60:63], 0 offset:856 ; 4-byte Folded Spill
	;; [unrolled: 1-line block ×4, first 2 shown]
	v_fma_f64 v[82:83], v[8:9], v[82:83], v[2:3]
	ds_read_b128 v[2:5], v108 offset:4352
	ds_read_b128 v[6:9], v108 offset:4624
	s_waitcnt vmcnt(0) lgkmcnt(1)
	v_mul_f64 v[84:85], v[4:5], v[88:89]
	v_fma_f64 v[84:85], v[2:3], v[86:87], -v[84:85]
	v_mul_f64 v[2:3], v[2:3], v[88:89]
	buffer_store_dword v86, off, s[60:63], 0 offset:788 ; 4-byte Folded Spill
	buffer_store_dword v87, off, s[60:63], 0 offset:792 ; 4-byte Folded Spill
	;; [unrolled: 1-line block ×4, first 2 shown]
	s_clause 0x1
	global_load_dwordx4 v[88:91], v[62:63], off offset:624
	global_load_dwordx4 v[92:95], v[62:63], off offset:640
	v_add_f64 v[84:85], v[68:69], -v[84:85]
	v_fma_f64 v[86:87], v[4:5], v[86:87], v[2:3]
	s_waitcnt vmcnt(1)
	v_mul_f64 v[2:3], v[28:29], v[90:91]
	v_add_f64 v[86:87], v[70:71], -v[86:87]
	v_fma_f64 v[62:63], v[26:27], v[88:89], -v[2:3]
	v_mul_f64 v[2:3], v[26:27], v[90:91]
	buffer_store_dword v88, off, s[60:63], 0 offset:868 ; 4-byte Folded Spill
	buffer_store_dword v89, off, s[60:63], 0 offset:872 ; 4-byte Folded Spill
	;; [unrolled: 1-line block ×4, first 2 shown]
	v_add_f64 v[62:63], v[72:73], -v[62:63]
	v_fma_f64 v[88:89], v[28:29], v[88:89], v[2:3]
	ds_read_b128 v[2:5], v108 offset:5984
	ds_read_b128 v[26:29], v108 offset:6256
	s_waitcnt vmcnt(0) lgkmcnt(1)
	v_mul_f64 v[90:91], v[4:5], v[94:95]
	v_add_f64 v[88:89], v[74:75], -v[88:89]
	v_fma_f64 v[90:91], v[2:3], v[92:93], -v[90:91]
	v_mul_f64 v[2:3], v[2:3], v[94:95]
	buffer_store_dword v92, off, s[60:63], 0 offset:820 ; 4-byte Folded Spill
	buffer_store_dword v93, off, s[60:63], 0 offset:824 ; 4-byte Folded Spill
	;; [unrolled: 1-line block ×4, first 2 shown]
	s_clause 0x1
	global_load_dwordx4 v[220:223], v[0:1], off offset:544
	global_load_dwordx4 v[96:99], v[0:1], off offset:560
	v_add_f64 v[90:91], v[76:77], -v[90:91]
	v_add_f64 v[122:123], v[86:87], v[90:91]
	v_fma_f64 v[92:93], v[4:5], v[92:93], v[2:3]
	s_waitcnt vmcnt(1)
	v_mul_f64 v[2:3], v[36:37], v[222:223]
	v_add_f64 v[92:93], v[78:79], -v[92:93]
	v_fma_f64 v[94:95], v[34:35], v[220:221], -v[2:3]
	v_mul_f64 v[2:3], v[34:35], v[222:223]
	v_add_f64 v[120:121], v[84:85], -v[92:93]
	v_fma_f64 v[34:35], v[36:37], v[220:221], v[2:3]
	s_waitcnt vmcnt(0)
	v_mul_f64 v[2:3], v[24:25], v[98:99]
	v_fma_f64 v[36:37], v[22:23], v[96:97], -v[2:3]
	v_mul_f64 v[2:3], v[22:23], v[98:99]
	buffer_store_dword v96, off, s[60:63], 0 offset:884 ; 4-byte Folded Spill
	buffer_store_dword v97, off, s[60:63], 0 offset:888 ; 4-byte Folded Spill
	;; [unrolled: 1-line block ×4, first 2 shown]
	s_clause 0x4
	global_load_dwordx4 v[228:231], v[0:1], off offset:576
	global_load_dwordx4 v[216:219], v[0:1], off offset:592
	;; [unrolled: 1-line block ×5, first 2 shown]
	v_fma_f64 v[96:97], v[24:25], v[96:97], v[2:3]
	s_waitcnt vmcnt(4)
	v_mul_f64 v[2:3], v[20:21], v[230:231]
	s_waitcnt vmcnt(0) lgkmcnt(0)
	v_mul_f64 v[0:1], v[28:29], v[238:239]
	v_fma_f64 v[98:99], v[18:19], v[228:229], -v[2:3]
	v_mul_f64 v[2:3], v[18:19], v[230:231]
	v_fma_f64 v[100:101], v[20:21], v[228:229], v[2:3]
	v_mul_f64 v[2:3], v[12:13], v[218:219]
	v_add_f64 v[20:21], v[56:57], v[64:65]
	v_fma_f64 v[22:23], v[10:11], v[216:217], -v[2:3]
	v_mul_f64 v[2:3], v[10:11], v[218:219]
	v_add_f64 v[22:23], v[14:15], -v[22:23]
	v_fma_f64 v[12:13], v[12:13], v[216:217], v[2:3]
	v_mul_f64 v[2:3], v[8:9], v[226:227]
	v_add_f64 v[12:13], v[16:17], -v[12:13]
	v_fma_f64 v[24:25], v[6:7], v[224:225], -v[2:3]
	v_mul_f64 v[2:3], v[6:7], v[226:227]
	v_fma_f64 v[16:17], v[16:17], 2.0, -v[12:13]
	v_fma_f64 v[102:103], v[8:9], v[224:225], v[2:3]
	v_mul_f64 v[2:3], v[32:33], v[234:235]
	v_add_f64 v[102:103], v[34:35], -v[102:103]
	v_fma_f64 v[104:105], v[30:31], v[232:233], -v[2:3]
	v_mul_f64 v[2:3], v[30:31], v[234:235]
	v_add_f64 v[104:105], v[36:37], -v[104:105]
	v_fma_f64 v[30:31], v[32:33], v[232:233], v[2:3]
	v_fma_f64 v[32:33], v[26:27], v[236:237], -v[0:1]
	v_mul_f64 v[0:1], v[26:27], v[238:239]
	v_add_f64 v[130:131], v[12:13], v[104:105]
	v_add_f64 v[30:31], v[96:97], -v[30:31]
	v_add_f64 v[32:33], v[98:99], -v[32:33]
	v_fma_f64 v[26:27], v[28:29], v[236:237], v[0:1]
	ds_read_b128 v[0:3], v108
	ds_read_b128 v[4:7], v108 offset:272
	v_fma_f64 v[134:135], v[12:13], 2.0, -v[130:131]
	s_waitcnt lgkmcnt(1)
	v_add_f64 v[8:9], v[0:1], -v[50:51]
	v_add_f64 v[10:11], v[2:3], -v[52:53]
	v_add_f64 v[52:53], v[42:43], -v[58:59]
	v_add_f64 v[58:59], v[44:45], -v[60:61]
	v_add_f64 v[60:61], v[48:49], -v[66:67]
	v_add_f64 v[26:27], v[100:101], -v[26:27]
	v_add_f64 v[128:129], v[22:23], -v[30:31]
	v_fma_f64 v[28:29], v[0:1], 2.0, -v[8:9]
	v_fma_f64 v[50:51], v[2:3], 2.0, -v[10:11]
	v_add_f64 v[106:107], v[10:11], v[52:53]
	v_add_f64 v[66:67], v[8:9], -v[58:59]
	v_add_f64 v[18:19], v[54:55], -v[60:61]
	v_fma_f64 v[132:133], v[22:23], 2.0, -v[128:129]
	v_fma_f64 v[2:3], v[20:21], s[4:5], v[106:107]
	v_fma_f64 v[112:113], v[8:9], 2.0, -v[66:67]
	v_fma_f64 v[0:1], v[18:19], s[4:5], v[66:67]
	v_fma_f64 v[114:115], v[10:11], 2.0, -v[106:107]
	v_fma_f64 v[10:11], v[54:55], 2.0, -v[18:19]
	;; [unrolled: 1-line block ×3, first 2 shown]
	v_fma_f64 v[2:3], v[18:19], s[4:5], v[2:3]
	v_fma_f64 v[0:1], v[20:21], s[0:1], v[0:1]
	;; [unrolled: 1-line block ×6, first 2 shown]
	s_waitcnt lgkmcnt(0)
	v_add_f64 v[18:19], v[4:5], -v[80:81]
	v_add_f64 v[20:21], v[6:7], -v[82:83]
	;; [unrolled: 1-line block ×3, first 2 shown]
	v_add_f64 v[118:119], v[20:21], v[62:63]
	v_fma_f64 v[80:81], v[4:5], 2.0, -v[18:19]
	v_fma_f64 v[82:83], v[6:7], 2.0, -v[20:21]
	v_fma_f64 v[4:5], v[120:121], s[4:5], v[116:117]
	v_fma_f64 v[124:125], v[18:19], 2.0, -v[116:117]
	v_fma_f64 v[126:127], v[20:21], 2.0, -v[118:119]
	;; [unrolled: 1-line block ×3, first 2 shown]
	v_fma_f64 v[6:7], v[122:123], s[4:5], v[118:119]
	v_fma_f64 v[20:21], v[84:85], 2.0, -v[120:121]
	v_fma_f64 v[4:5], v[122:123], s[0:1], v[4:5]
	v_fma_f64 v[122:123], v[18:19], s[0:1], v[126:127]
	;; [unrolled: 1-line block ×5, first 2 shown]
	v_add_f64 v[122:123], v[94:95], -v[24:25]
	v_add_f64 v[24:25], v[102:103], v[32:33]
	v_fma_f64 v[18:19], v[18:19], s[0:1], v[120:121]
	v_fma_f64 v[120:121], v[14:15], 2.0, -v[22:23]
	v_add_f64 v[14:15], v[122:123], -v[26:27]
	v_fma_f64 v[250:251], v[24:25], s[4:5], v[130:131]
	v_fma_f64 v[248:249], v[14:15], s[4:5], v[128:129]
	;; [unrolled: 1-line block ×3, first 2 shown]
	v_fma_f64 v[12:13], v[122:123], 2.0, -v[14:15]
	v_fma_f64 v[14:15], v[102:103], 2.0, -v[24:25]
	v_fma_f64 v[252:253], v[24:25], s[0:1], v[248:249]
	v_fma_f64 v[22:23], v[12:13], s[0:1], v[132:133]
	;; [unrolled: 1-line block ×5, first 2 shown]
	v_fma_f64 v[12:13], v[42:43], 2.0, -v[52:53]
	v_fma_f64 v[14:15], v[44:45], 2.0, -v[58:59]
	;; [unrolled: 1-line block ×4, first 2 shown]
	s_add_u32 s4, s6, 0x1980
	s_addc_u32 s5, s7, 0
	v_add_f64 v[42:43], v[28:29], -v[12:13]
	v_add_f64 v[44:45], v[50:51], -v[14:15]
	;; [unrolled: 1-line block ×5, first 2 shown]
	v_add_f64 v[14:15], v[44:45], v[48:49]
	v_fma_f64 v[22:23], v[42:43], 2.0, -v[12:13]
	v_fma_f64 v[24:25], v[44:45], 2.0, -v[14:15]
	ds_write_b128 v108, v[12:15] offset:4896
	v_fma_f64 v[12:13], v[66:67], 2.0, -v[0:1]
	v_fma_f64 v[14:15], v[106:107], 2.0, -v[2:3]
	ds_write_b128 v108, v[0:3] offset:5712
	ds_write_b128 v108, v[22:25] offset:1632
	;; [unrolled: 1-line block ×3, first 2 shown]
	v_fma_f64 v[12:13], v[28:29], 2.0, -v[42:43]
	v_fma_f64 v[14:15], v[50:51], 2.0, -v[44:45]
	;; [unrolled: 1-line block ×4, first 2 shown]
	v_add_f64 v[0:1], v[12:13], -v[0:1]
	v_add_f64 v[2:3], v[14:15], -v[2:3]
	v_fma_f64 v[12:13], v[12:13], 2.0, -v[0:1]
	v_fma_f64 v[14:15], v[14:15], 2.0, -v[2:3]
	ds_write_b128 v108, v[0:3] offset:3264
	v_fma_f64 v[0:1], v[112:113], 2.0, -v[8:9]
	v_fma_f64 v[2:3], v[114:115], 2.0, -v[10:11]
	ds_write_b128 v108, v[8:11] offset:4080
	ds_write_b128 v108, v[12:15]
	ds_write_b128 v108, v[0:3] offset:816
	v_fma_f64 v[0:1], v[72:73], 2.0, -v[62:63]
	v_fma_f64 v[2:3], v[74:75], 2.0, -v[88:89]
	;; [unrolled: 1-line block ×6, first 2 shown]
	v_add_f64 v[22:23], v[80:81], -v[0:1]
	v_add_f64 v[24:25], v[82:83], -v[2:3]
	;; [unrolled: 1-line block ×4, first 2 shown]
	v_fma_f64 v[28:29], v[80:81], 2.0, -v[22:23]
	v_fma_f64 v[38:39], v[82:83], 2.0, -v[24:25]
	;; [unrolled: 1-line block ×4, first 2 shown]
	v_add_f64 v[0:1], v[28:29], -v[0:1]
	v_add_f64 v[2:3], v[38:39], -v[2:3]
	v_fma_f64 v[8:9], v[28:29], 2.0, -v[0:1]
	v_fma_f64 v[10:11], v[38:39], 2.0, -v[2:3]
	ds_write_b128 v108, v[8:11] offset:272
	s_clause 0x1
	buffer_load_dword v28, off, s[60:63], 0 offset:488
	buffer_load_dword v29, off, s[60:63], 0
	v_fma_f64 v[8:9], v[124:125], 2.0, -v[18:19]
	v_fma_f64 v[10:11], v[126:127], 2.0, -v[20:21]
	s_waitcnt vmcnt(0)
	v_lshl_add_u32 v109, v29, 4, v28
	ds_write_b128 v109, v[8:11] offset:1088
	v_add_f64 v[8:9], v[22:23], -v[14:15]
	v_add_f64 v[10:11], v[24:25], v[12:13]
	v_fma_f64 v[12:13], v[22:23], 2.0, -v[8:9]
	v_fma_f64 v[14:15], v[24:25], 2.0, -v[10:11]
	ds_write_b128 v109, v[12:15] offset:1904
	v_fma_f64 v[12:13], v[116:117], 2.0, -v[4:5]
	v_fma_f64 v[14:15], v[118:119], 2.0, -v[6:7]
	ds_write_b128 v109, v[12:15] offset:2720
	ds_write_b128 v109, v[0:3] offset:3536
	;; [unrolled: 1-line block ×5, first 2 shown]
	v_fma_f64 v[0:1], v[36:37], 2.0, -v[104:105]
	v_fma_f64 v[2:3], v[96:97], 2.0, -v[30:31]
	;; [unrolled: 1-line block ×6, first 2 shown]
	v_lshlrev_b32_e32 v20, 4, v214
	v_add_f64 v[12:13], v[120:121], -v[0:1]
	v_add_f64 v[14:15], v[16:17], -v[2:3]
	;; [unrolled: 1-line block ×4, first 2 shown]
	v_fma_f64 v[0:1], v[120:121], 2.0, -v[12:13]
	v_fma_f64 v[2:3], v[16:17], 2.0, -v[14:15]
	;; [unrolled: 1-line block ×4, first 2 shown]
	v_add_f64 v[16:17], v[12:13], -v[10:11]
	v_add_f64 v[18:19], v[14:15], v[8:9]
	v_fma_f64 v[8:9], v[128:129], 2.0, -v[252:253]
	v_fma_f64 v[10:11], v[130:131], 2.0, -v[254:255]
	v_add_f64 v[4:5], v[0:1], -v[4:5]
	v_add_f64 v[6:7], v[2:3], -v[6:7]
	v_fma_f64 v[12:13], v[12:13], 2.0, -v[16:17]
	v_fma_f64 v[14:15], v[14:15], 2.0, -v[18:19]
	;; [unrolled: 1-line block ×4, first 2 shown]
	ds_write_b128 v108, v[0:3] offset:544
	v_fma_f64 v[0:1], v[132:133], 2.0, -v[248:249]
	v_fma_f64 v[2:3], v[134:135], 2.0, -v[250:251]
	ds_write_b128 v109, v[0:3] offset:1360
	ds_write_b128 v109, v[12:15] offset:2176
	;; [unrolled: 1-line block ×7, first 2 shown]
	s_waitcnt lgkmcnt(0)
	s_waitcnt_vscnt null, 0x0
	s_barrier
	buffer_gl0_inv
	buffer_load_dword v21, off, s[60:63], 0 offset:484 ; 4-byte Folded Reload
	s_waitcnt vmcnt(0)
	s_clause 0x1
	global_load_dwordx4 v[21:24], v21, s[4:5]
	global_load_dwordx4 v[25:28], v20, s[4:5]
	ds_read_b128 v[29:32], v108
	ds_read_b128 v[33:36], v108 offset:384
	s_waitcnt vmcnt(0) lgkmcnt(1)
	v_mul_f64 v[37:38], v[31:32], v[27:28]
	v_mul_f64 v[39:40], v[29:30], v[27:28]
	v_fma_f64 v[27:28], v[29:30], v[25:26], -v[37:38]
	v_fma_f64 v[29:30], v[31:32], v[25:26], v[39:40]
	s_clause 0x1
	global_load_dwordx4 v[37:40], v20, s[4:5] offset:384
	global_load_dwordx4 v[41:44], v20, s[4:5] offset:768
	s_waitcnt vmcnt(1) lgkmcnt(0)
	v_mul_f64 v[25:26], v[35:36], v[39:40]
	v_mul_f64 v[39:40], v[33:34], v[39:40]
	v_fma_f64 v[31:32], v[33:34], v[37:38], -v[25:26]
	v_fma_f64 v[33:34], v[35:36], v[37:38], v[39:40]
	ds_read_b128 v[35:38], v108 offset:768
	ds_read_b128 v[45:48], v108 offset:1152
	s_waitcnt vmcnt(0) lgkmcnt(1)
	v_mul_f64 v[25:26], v[37:38], v[43:44]
	v_mul_f64 v[39:40], v[35:36], v[43:44]
	v_fma_f64 v[49:50], v[35:36], v[41:42], -v[25:26]
	v_fma_f64 v[51:52], v[37:38], v[41:42], v[39:40]
	s_clause 0x1
	global_load_dwordx4 v[35:38], v20, s[4:5] offset:1152
	global_load_dwordx4 v[39:42], v20, s[4:5] offset:1536
	s_waitcnt vmcnt(1) lgkmcnt(0)
	v_mul_f64 v[25:26], v[47:48], v[37:38]
	v_mul_f64 v[37:38], v[45:46], v[37:38]
	v_fma_f64 v[43:44], v[45:46], v[35:36], -v[25:26]
	v_fma_f64 v[45:46], v[47:48], v[35:36], v[37:38]
	ds_read_b128 v[35:38], v108 offset:1536
	ds_read_b128 v[53:56], v108 offset:1920
	s_waitcnt vmcnt(0) lgkmcnt(1)
	v_mul_f64 v[25:26], v[37:38], v[41:42]
	v_mul_f64 v[41:42], v[35:36], v[41:42]
	v_fma_f64 v[57:58], v[35:36], v[39:40], -v[25:26]
	v_add_co_u32 v36, s0, s4, v20
	v_fma_f64 v[59:60], v[37:38], v[39:40], v[41:42]
	v_add_co_ci_u32_e64 v37, null, s5, 0, s0
	v_add_co_u32 v40, s0, 0x800, v36
	v_add_co_ci_u32_e64 v41, s0, 0, v37, s0
	s_clause 0x1
	global_load_dwordx4 v[61:64], v20, s[4:5] offset:1920
	global_load_dwordx4 v[65:68], v[40:41], off offset:256
	s_waitcnt vmcnt(1) lgkmcnt(0)
	v_mul_f64 v[25:26], v[55:56], v[63:64]
	v_mul_f64 v[38:39], v[53:54], v[63:64]
	v_fma_f64 v[53:54], v[53:54], v[61:62], -v[25:26]
	v_fma_f64 v[55:56], v[55:56], v[61:62], v[38:39]
	ds_read_b128 v[61:64], v108 offset:2304
	ds_read_b128 v[69:72], v108 offset:2688
	s_waitcnt vmcnt(0) lgkmcnt(1)
	v_mul_f64 v[25:26], v[63:64], v[67:68]
	v_mul_f64 v[38:39], v[61:62], v[67:68]
	v_fma_f64 v[61:62], v[61:62], v[65:66], -v[25:26]
	v_fma_f64 v[63:64], v[63:64], v[65:66], v[38:39]
	s_clause 0x1
	global_load_dwordx4 v[65:68], v[40:41], off offset:640
	global_load_dwordx4 v[73:76], v[40:41], off offset:1408
	buffer_load_dword v20, off, s[60:63], 0 offset:492 ; 4-byte Folded Reload
	s_waitcnt vmcnt(2) lgkmcnt(0)
	v_mul_f64 v[25:26], v[71:72], v[67:68]
	v_mul_f64 v[38:39], v[69:70], v[67:68]
	s_waitcnt vmcnt(0)
	global_load_dwordx4 v[77:80], v20, s[4:5]
	v_lshlrev_b32_e32 v20, 4, v215
	global_load_dwordx4 v[81:84], v20, s[4:5]
	ds_read_b128 v[85:88], v108 offset:3072
	ds_read_b128 v[89:92], v108 offset:3456
	v_fma_f64 v[67:68], v[69:70], v[65:66], -v[25:26]
	v_fma_f64 v[69:70], v[71:72], v[65:66], v[38:39]
	s_waitcnt vmcnt(1) lgkmcnt(1)
	v_mul_f64 v[25:26], v[87:88], v[79:80]
	v_mul_f64 v[38:39], v[85:86], v[79:80]
	v_fma_f64 v[85:86], v[85:86], v[77:78], -v[25:26]
	v_fma_f64 v[87:88], v[87:88], v[77:78], v[38:39]
	s_waitcnt lgkmcnt(0)
	v_mul_f64 v[25:26], v[91:92], v[75:76]
	v_mul_f64 v[38:39], v[89:90], v[75:76]
	v_fma_f64 v[71:72], v[89:90], v[73:74], -v[25:26]
	v_fma_f64 v[73:74], v[91:92], v[73:74], v[38:39]
	v_add_co_u32 v38, s0, 0x1000, v36
	v_add_co_ci_u32_e64 v39, s0, 0, v37, s0
	s_clause 0x1
	global_load_dwordx4 v[75:78], v[40:41], off offset:1792
	global_load_dwordx4 v[89:92], v[38:39], off offset:128
	ds_read_b128 v[93:96], v108 offset:3840
	ds_read_b128 v[97:100], v108 offset:4224
	s_waitcnt vmcnt(1) lgkmcnt(1)
	v_mul_f64 v[25:26], v[95:96], v[77:78]
	v_mul_f64 v[47:48], v[93:94], v[77:78]
	v_fma_f64 v[77:78], v[93:94], v[75:76], -v[25:26]
	v_fma_f64 v[79:80], v[95:96], v[75:76], v[47:48]
	s_waitcnt vmcnt(0) lgkmcnt(0)
	v_mul_f64 v[25:26], v[99:100], v[91:92]
	v_mul_f64 v[47:48], v[97:98], v[91:92]
	v_fma_f64 v[91:92], v[97:98], v[89:90], -v[25:26]
	v_fma_f64 v[93:94], v[99:100], v[89:90], v[47:48]
	ds_read_b128 v[95:98], v108 offset:4608
	ds_read_b128 v[99:102], v108 offset:4992
	s_waitcnt lgkmcnt(1)
	v_mul_f64 v[25:26], v[97:98], v[83:84]
	v_mul_f64 v[47:48], v[95:96], v[83:84]
	v_fma_f64 v[95:96], v[95:96], v[81:82], -v[25:26]
	v_fma_f64 v[97:98], v[97:98], v[81:82], v[47:48]
	s_clause 0x1
	global_load_dwordx4 v[81:84], v[38:39], off offset:896
	global_load_dwordx4 v[103:106], v[38:39], off offset:1280
	s_waitcnt vmcnt(1) lgkmcnt(0)
	v_mul_f64 v[25:26], v[101:102], v[83:84]
	v_mul_f64 v[47:48], v[99:100], v[83:84]
	v_fma_f64 v[99:100], v[99:100], v[81:82], -v[25:26]
	v_fma_f64 v[101:102], v[101:102], v[81:82], v[47:48]
	ds_read_b128 v[81:84], v108 offset:5376
	ds_read_b128 v[112:115], v108 offset:5760
	s_waitcnt vmcnt(0) lgkmcnt(1)
	v_mul_f64 v[25:26], v[83:84], v[105:106]
	v_mul_f64 v[47:48], v[81:82], v[105:106]
	v_fma_f64 v[81:82], v[81:82], v[103:104], -v[25:26]
	v_fma_f64 v[83:84], v[83:84], v[103:104], v[47:48]
	global_load_dwordx4 v[103:106], v[38:39], off offset:1664
	s_waitcnt vmcnt(0) lgkmcnt(0)
	v_mul_f64 v[25:26], v[114:115], v[105:106]
	v_mul_f64 v[47:48], v[112:113], v[105:106]
	v_fma_f64 v[112:113], v[112:113], v[103:104], -v[25:26]
	v_fma_f64 v[114:115], v[114:115], v[103:104], v[47:48]
	ds_read_b128 v[103:106], v108 offset:6144
	s_waitcnt lgkmcnt(0)
	v_mul_f64 v[25:26], v[105:106], v[23:24]
	v_mul_f64 v[47:48], v[103:104], v[23:24]
	v_fma_f64 v[23:24], v[103:104], v[21:22], -v[25:26]
	v_fma_f64 v[25:26], v[105:106], v[21:22], v[47:48]
	ds_write_b128 v108, v[27:30]
	ds_write_b128 v108, v[31:34] offset:384
	ds_write_b128 v108, v[49:52] offset:768
	ds_write_b128 v108, v[43:46] offset:1152
	ds_write_b128 v108, v[57:60] offset:1536
	ds_write_b128 v108, v[53:56] offset:1920
	ds_write_b128 v108, v[61:64] offset:2304
	ds_write_b128 v108, v[67:70] offset:2688
	ds_write_b128 v108, v[85:88] offset:3072
	ds_write_b128 v108, v[71:74] offset:3456
	ds_write_b128 v108, v[77:80] offset:3840
	ds_write_b128 v108, v[91:94] offset:4224
	ds_write_b128 v108, v[95:98] offset:4608
	ds_write_b128 v108, v[99:102] offset:4992
	ds_write_b128 v108, v[81:84] offset:5376
	ds_write_b128 v108, v[112:115] offset:5760
	ds_write_b128 v108, v[23:26] offset:6144
	s_and_saveexec_b32 s1, vcc_lo
	s_cbranch_execz .LBB0_9
; %bb.8:
	s_clause 0xe
	global_load_dwordx4 v[20:23], v[36:37], off offset:272
	global_load_dwordx4 v[24:27], v[36:37], off offset:656
	;; [unrolled: 1-line block ×15, first 2 shown]
	v_add_co_u32 v40, s0, 0x1800, v36
	v_add_co_ci_u32_e64 v41, s0, 0, v37, s0
	s_clause 0x1
	global_load_dwordx4 v[36:39], v[38:39], off offset:1936
	global_load_dwordx4 v[86:89], v[40:41], off offset:272
	ds_read_b128 v[90:93], v108 offset:272
	ds_read_b128 v[94:97], v108 offset:656
	;; [unrolled: 1-line block ×8, first 2 shown]
	s_waitcnt vmcnt(16) lgkmcnt(7)
	v_mul_f64 v[40:41], v[92:93], v[22:23]
	v_mul_f64 v[22:23], v[90:91], v[22:23]
	s_waitcnt vmcnt(15) lgkmcnt(6)
	v_mul_f64 v[106:107], v[96:97], v[26:27]
	v_mul_f64 v[26:27], v[94:95], v[26:27]
	;; [unrolled: 3-line block ×7, first 2 shown]
	v_fma_f64 v[90:91], v[90:91], v[20:21], -v[40:41]
	v_fma_f64 v[92:93], v[92:93], v[20:21], v[22:23]
	ds_read_b128 v[20:23], v108 offset:3344
	v_fma_f64 v[94:95], v[94:95], v[24:25], -v[106:107]
	v_fma_f64 v[96:97], v[96:97], v[24:25], v[26:27]
	ds_read_b128 v[24:27], v108 offset:3728
	v_mul_f64 v[106:107], v[122:123], v[52:53]
	v_mul_f64 v[52:53], v[120:121], v[52:53]
	v_fma_f64 v[98:99], v[98:99], v[28:29], -v[128:129]
	v_fma_f64 v[100:101], v[100:101], v[28:29], v[30:31]
	ds_read_b128 v[28:31], v108 offset:4112
	v_fma_f64 v[102:103], v[102:103], v[32:33], -v[130:131]
	v_fma_f64 v[104:105], v[104:105], v[32:33], v[34:35]
	ds_read_b128 v[32:35], v108 offset:4496
	;; [unrolled: 3-line block ×3, first 2 shown]
	ds_read_b128 v[128:131], v108 offset:5264
	v_fma_f64 v[44:45], v[116:117], v[46:47], -v[134:135]
	v_fma_f64 v[46:47], v[118:119], v[46:47], v[48:49]
	s_waitcnt vmcnt(8) lgkmcnt(5)
	v_mul_f64 v[138:139], v[22:23], v[60:61]
	v_mul_f64 v[60:61], v[20:21], v[60:61]
	s_waitcnt vmcnt(7) lgkmcnt(4)
	v_mul_f64 v[132:133], v[26:27], v[64:65]
	v_mul_f64 v[64:65], v[24:25], v[64:65]
	v_fma_f64 v[48:49], v[120:121], v[50:51], -v[106:107]
	v_fma_f64 v[50:51], v[122:123], v[50:51], v[52:53]
	s_waitcnt vmcnt(6) lgkmcnt(3)
	v_mul_f64 v[106:107], v[30:31], v[68:69]
	ds_read_b128 v[116:119], v108 offset:5648
	ds_read_b128 v[120:123], v108 offset:6032
	v_fma_f64 v[52:53], v[124:125], v[54:55], -v[136:137]
	v_fma_f64 v[54:55], v[126:127], v[54:55], v[56:57]
	ds_read_b128 v[124:127], v108 offset:6416
	v_mul_f64 v[68:69], v[28:29], v[68:69]
	s_waitcnt vmcnt(5) lgkmcnt(5)
	v_mul_f64 v[56:57], v[34:35], v[72:73]
	v_mul_f64 v[72:73], v[32:33], v[72:73]
	v_fma_f64 v[20:21], v[20:21], v[58:59], -v[138:139]
	v_fma_f64 v[22:23], v[22:23], v[58:59], v[60:61]
	s_waitcnt vmcnt(4) lgkmcnt(4)
	v_mul_f64 v[58:59], v[114:115], v[76:77]
	v_mul_f64 v[60:61], v[112:113], v[76:77]
	s_waitcnt vmcnt(3) lgkmcnt(3)
	v_mul_f64 v[76:77], v[130:131], v[80:81]
	v_mul_f64 v[80:81], v[128:129], v[80:81]
	v_fma_f64 v[26:27], v[26:27], v[62:63], v[64:65]
	s_waitcnt vmcnt(2) lgkmcnt(2)
	v_mul_f64 v[64:65], v[118:119], v[84:85]
	v_mul_f64 v[84:85], v[116:117], v[84:85]
	v_fma_f64 v[24:25], v[24:25], v[62:63], -v[132:133]
	s_waitcnt vmcnt(1) lgkmcnt(1)
	v_mul_f64 v[132:133], v[122:123], v[38:39]
	v_mul_f64 v[38:39], v[120:121], v[38:39]
	v_fma_f64 v[28:29], v[28:29], v[66:67], -v[106:107]
	s_waitcnt vmcnt(0) lgkmcnt(0)
	v_mul_f64 v[106:107], v[126:127], v[88:89]
	v_mul_f64 v[88:89], v[124:125], v[88:89]
	v_fma_f64 v[30:31], v[30:31], v[66:67], v[68:69]
	v_fma_f64 v[32:33], v[32:33], v[70:71], -v[56:57]
	v_fma_f64 v[34:35], v[34:35], v[70:71], v[72:73]
	v_fma_f64 v[56:57], v[112:113], v[74:75], -v[58:59]
	;; [unrolled: 2-line block ×6, first 2 shown]
	v_fma_f64 v[38:39], v[126:127], v[86:87], v[88:89]
	ds_write_b128 v108, v[90:93] offset:272
	ds_write_b128 v108, v[94:97] offset:656
	;; [unrolled: 1-line block ×17, first 2 shown]
.LBB0_9:
	s_or_b32 exec_lo, exec_lo, s1
	s_waitcnt lgkmcnt(0)
	s_barrier
	buffer_gl0_inv
	ds_read_b128 v[48:51], v108
	ds_read_b128 v[84:87], v108 offset:384
	ds_read_b128 v[80:83], v108 offset:768
	;; [unrolled: 1-line block ×16, first 2 shown]
	s_and_saveexec_b32 s0, vcc_lo
	s_cbranch_execz .LBB0_11
; %bb.10:
	buffer_load_dword v0, off, s[60:63], 0 offset:480 ; 4-byte Folded Reload
	s_waitcnt vmcnt(0)
	v_lshl_add_u32 v88, v214, 4, v0
	ds_read_b128 v[0:3], v108 offset:272
	ds_read_b128 v[12:15], v88 offset:656
	ds_read_b128 v[8:11], v88 offset:1040
	ds_read_b128 v[4:7], v88 offset:1424
	ds_read_b128 v[248:251], v88 offset:1808
	ds_read_b128 v[16:19], v88 offset:2192
	ds_read_b128 v[252:255], v88 offset:2576
	ds_read_b128 v[89:92], v88 offset:2960
	s_waitcnt lgkmcnt(0)
	buffer_store_dword v89, off, s[60:63], 0 offset:100 ; 4-byte Folded Spill
	buffer_store_dword v90, off, s[60:63], 0 offset:104 ; 4-byte Folded Spill
	buffer_store_dword v91, off, s[60:63], 0 offset:108 ; 4-byte Folded Spill
	buffer_store_dword v92, off, s[60:63], 0 offset:112 ; 4-byte Folded Spill
	ds_read_b128 v[89:92], v88 offset:3344
	s_waitcnt lgkmcnt(0)
	buffer_store_dword v89, off, s[60:63], 0 offset:132 ; 4-byte Folded Spill
	buffer_store_dword v90, off, s[60:63], 0 offset:136 ; 4-byte Folded Spill
	buffer_store_dword v91, off, s[60:63], 0 offset:140 ; 4-byte Folded Spill
	buffer_store_dword v92, off, s[60:63], 0 offset:144 ; 4-byte Folded Spill
	ds_read_b128 v[89:92], v88 offset:3728
	;; [unrolled: 6-line block ×9, first 2 shown]
	s_waitcnt lgkmcnt(0)
	buffer_store_dword v88, off, s[60:63], 0 offset:4 ; 4-byte Folded Spill
	buffer_store_dword v89, off, s[60:63], 0 offset:8 ; 4-byte Folded Spill
	;; [unrolled: 1-line block ×4, first 2 shown]
.LBB0_11:
	s_or_b32 exec_lo, exec_lo, s0
	s_waitcnt lgkmcnt(15)
	v_add_f64 v[88:89], v[48:49], v[84:85]
	v_add_f64 v[90:91], v[50:51], v[86:87]
	s_waitcnt lgkmcnt(1)
	v_add_f64 v[100:101], v[82:83], -v[54:55]
	v_add_f64 v[96:97], v[78:79], v[66:67]
	v_add_f64 v[98:99], v[78:79], -v[66:67]
	v_add_f64 v[102:103], v[70:71], v[74:75]
	s_mov_b32 s26, 0x5d8e7cdc
	s_mov_b32 s0, 0x370991
	s_mov_b32 s30, 0x2a9d6da3
	s_mov_b32 s4, 0x75d4884
	s_mov_b32 s40, 0x7c9e640b
	s_mov_b32 s14, 0x2b2883cd
	s_mov_b32 s22, 0xeb564b22
	s_mov_b32 s16, 0x3259b75e
	s_mov_b32 s44, 0x923c349f
	s_mov_b32 s28, 0xc61f0d01
	s_mov_b32 s36, 0x6c9a05f6
	s_mov_b32 s20, 0x6ed5f1bb
	s_mov_b32 s38, 0x4363dd80
	s_mov_b32 s24, 0x910ea3b9
	s_mov_b32 s46, 0xacd6c6b4
	s_mov_b32 s34, 0x7faef3
	v_add_f64 v[88:89], v[88:89], v[80:81]
	v_add_f64 v[90:91], v[90:91], v[82:83]
	s_mov_b32 s27, 0xbfd71e95
	s_mov_b32 s1, 0x3fedd6d0
	;; [unrolled: 1-line block ×20, first 2 shown]
	v_add_f64 v[88:89], v[88:89], v[76:77]
	v_add_f64 v[90:91], v[90:91], v[78:79]
	;; [unrolled: 1-line block ×3, first 2 shown]
	s_mov_b32 s43, 0x3feec746
	s_mov_b32 s49, 0x3fe0d888
	;; [unrolled: 1-line block ×11, first 2 shown]
	v_mul_f64 v[158:159], v[100:101], s[46:47]
	v_mul_f64 v[160:161], v[100:101], s[48:49]
	;; [unrolled: 1-line block ×4, first 2 shown]
	s_waitcnt lgkmcnt(0)
	s_waitcnt_vscnt null, 0x0
	s_barrier
	buffer_gl0_inv
	v_add_f64 v[88:89], v[88:89], v[68:69]
	v_add_f64 v[90:91], v[90:91], v[70:71]
	v_add_f64 v[68:69], v[68:69], -v[72:73]
	v_add_f64 v[88:89], v[88:89], v[56:57]
	v_add_f64 v[90:91], v[90:91], v[58:59]
	;; [unrolled: 1-line block ×15, first 2 shown]
	v_add_f64 v[86:87], v[86:87], -v[46:47]
	v_add_f64 v[88:89], v[84:85], v[44:45]
	v_add_f64 v[84:85], v[84:85], -v[44:45]
	v_add_f64 v[92:93], v[92:93], v[60:61]
	v_add_f64 v[94:95], v[94:95], v[62:63]
	v_mul_f64 v[118:119], v[90:91], s[0:1]
	v_mul_f64 v[112:113], v[86:87], s[44:45]
	;; [unrolled: 1-line block ×8, first 2 shown]
	v_add_f64 v[104:105], v[92:93], v[72:73]
	v_add_f64 v[106:107], v[94:95], v[74:75]
	;; [unrolled: 1-line block ×4, first 2 shown]
	v_add_f64 v[76:77], v[76:77], -v[64:65]
	v_add_f64 v[72:73], v[70:71], -v[74:75]
	v_add_f64 v[70:71], v[56:57], v[60:61]
	v_add_f64 v[56:57], v[56:57], -v[60:61]
	v_add_f64 v[94:95], v[80:81], v[52:53]
	v_add_f64 v[80:81], v[80:81], -v[52:53]
	v_add_f64 v[74:75], v[58:59], v[62:63]
	v_add_f64 v[58:59], v[58:59], -v[62:63]
	v_mul_f64 v[62:63], v[86:87], s[26:27]
	v_fma_f64 v[136:137], v[88:89], s[28:29], v[112:113]
	v_fma_f64 v[112:113], v[88:89], s[28:29], -v[112:113]
	v_fma_f64 v[138:139], v[88:89], s[20:21], v[114:115]
	v_fma_f64 v[114:115], v[88:89], s[20:21], -v[114:115]
	v_fma_f64 v[140:141], v[88:89], s[24:25], v[116:117]
	v_fma_f64 v[142:143], v[84:85], s[6:7], v[118:119]
	;; [unrolled: 1-line block ×5, first 2 shown]
	v_add_f64 v[60:61], v[104:105], v[64:65]
	v_add_f64 v[64:65], v[106:107], v[66:67]
	v_mul_f64 v[66:67], v[86:87], s[30:31]
	v_mul_f64 v[104:105], v[86:87], s[40:41]
	;; [unrolled: 1-line block ×4, first 2 shown]
	v_fma_f64 v[124:125], v[84:85], s[36:37], v[124:125]
	v_fma_f64 v[150:151], v[84:85], s[48:49], v[126:127]
	;; [unrolled: 1-line block ×3, first 2 shown]
	v_mul_f64 v[186:187], v[92:93], s[16:17]
	v_mul_f64 v[192:193], v[92:93], s[24:25]
	v_fma_f64 v[176:177], v[94:95], s[34:35], v[158:159]
	v_fma_f64 v[128:129], v[88:89], s[0:1], v[62:63]
	v_fma_f64 v[62:63], v[88:89], s[0:1], -v[62:63]
	v_add_f64 v[136:137], v[48:49], v[136:137]
	v_add_f64 v[112:113], v[48:49], v[112:113]
	;; [unrolled: 1-line block ×6, first 2 shown]
	v_fma_f64 v[158:159], v[94:95], s[34:35], -v[158:159]
	v_fma_f64 v[178:179], v[94:95], s[24:25], v[160:161]
	v_add_f64 v[52:53], v[60:61], v[52:53]
	v_add_f64 v[54:55], v[64:65], v[54:55]
	v_mul_f64 v[60:61], v[90:91], s[16:17]
	v_mul_f64 v[64:65], v[90:91], s[28:29]
	;; [unrolled: 1-line block ×3, first 2 shown]
	v_fma_f64 v[130:131], v[88:89], s[4:5], v[66:67]
	v_fma_f64 v[66:67], v[88:89], s[4:5], -v[66:67]
	v_fma_f64 v[132:133], v[88:89], s[14:15], v[104:105]
	v_fma_f64 v[104:105], v[88:89], s[14:15], -v[104:105]
	;; [unrolled: 2-line block ×3, first 2 shown]
	v_add_f64 v[124:125], v[50:51], v[124:125]
	v_add_f64 v[126:127], v[50:51], v[126:127]
	v_add_f64 v[62:63], v[48:49], v[62:63]
	v_fma_f64 v[160:161], v[94:95], s[24:25], -v[160:161]
	v_fma_f64 v[180:181], v[94:95], s[28:29], v[162:163]
	v_fma_f64 v[162:163], v[94:95], s[28:29], -v[162:163]
	v_fma_f64 v[182:183], v[94:95], s[14:15], v[164:165]
	v_fma_f64 v[164:165], v[94:95], s[14:15], -v[164:165]
	v_mul_f64 v[188:189], v[92:93], s[20:21]
	v_mul_f64 v[190:191], v[92:93], s[34:35]
	;; [unrolled: 1-line block ×3, first 2 shown]
	v_add_f64 v[44:45], v[52:53], v[44:45]
	v_add_f64 v[46:47], v[54:55], v[46:47]
	v_fma_f64 v[52:53], v[84:85], s[12:13], v[120:121]
	v_fma_f64 v[54:55], v[88:89], s[24:25], -v[116:117]
	v_fma_f64 v[116:117], v[84:85], s[30:31], v[120:121]
	v_fma_f64 v[120:121], v[88:89], s[34:35], v[86:87]
	v_fma_f64 v[86:87], v[88:89], s[34:35], -v[86:87]
	v_fma_f64 v[88:89], v[84:85], s[40:41], v[122:123]
	v_fma_f64 v[122:123], v[84:85], s[52:53], v[60:61]
	;; [unrolled: 1-line block ×7, first 2 shown]
	v_add_f64 v[90:91], v[48:49], v[128:129]
	v_add_f64 v[128:129], v[50:51], v[142:143]
	;; [unrolled: 1-line block ×9, first 2 shown]
	v_mul_f64 v[196:197], v[92:93], s[14:15]
	v_add_f64 v[52:53], v[50:51], v[52:53]
	v_add_f64 v[54:55], v[48:49], v[54:55]
	;; [unrolled: 1-line block ×14, first 2 shown]
	v_mul_f64 v[84:85], v[100:101], s[30:31]
	v_mul_f64 v[86:87], v[100:101], s[22:23]
	;; [unrolled: 1-line block ×4, first 2 shown]
	v_fma_f64 v[200:201], v[80:81], s[52:53], v[186:187]
	v_fma_f64 v[186:187], v[80:81], s[22:23], v[186:187]
	;; [unrolled: 1-line block ×12, first 2 shown]
	v_add_f64 v[106:107], v[158:159], v[106:107]
	v_add_f64 v[112:113], v[160:161], v[112:113]
	;; [unrolled: 1-line block ×4, first 2 shown]
	v_fma_f64 v[166:167], v[94:95], s[4:5], v[84:85]
	v_fma_f64 v[84:85], v[94:95], s[4:5], -v[84:85]
	v_fma_f64 v[172:173], v[94:95], s[16:17], v[86:87]
	v_fma_f64 v[86:87], v[94:95], s[16:17], -v[86:87]
	;; [unrolled: 2-line block ×4, first 2 shown]
	v_mul_f64 v[100:101], v[92:93], s[4:5]
	v_mul_f64 v[92:93], v[92:93], s[0:1]
	v_add_f64 v[52:53], v[200:201], v[52:53]
	v_add_f64 v[88:89], v[188:189], v[88:89]
	;; [unrolled: 1-line block ×13, first 2 shown]
	v_mul_f64 v[144:145], v[98:99], s[40:41]
	v_fma_f64 v[198:199], v[80:81], s[12:13], v[100:101]
	v_fma_f64 v[100:101], v[80:81], s[30:31], v[100:101]
	v_fma_f64 v[212:213], v[80:81], s[26:27], v[92:93]
	v_fma_f64 v[80:81], v[80:81], s[6:7], v[92:93]
	v_add_f64 v[48:49], v[94:95], v[48:49]
	v_add_f64 v[104:105], v[156:157], v[104:105]
	;; [unrolled: 1-line block ×3, first 2 shown]
	v_fma_f64 v[94:95], v[82:83], s[14:15], v[144:145]
	v_add_f64 v[92:93], v[198:199], v[128:129]
	v_add_f64 v[84:85], v[100:101], v[118:119]
	v_fma_f64 v[144:145], v[82:83], s[14:15], -v[144:145]
	v_add_f64 v[50:51], v[80:81], v[50:51]
	v_mul_f64 v[80:81], v[96:97], s[14:15]
	v_add_f64 v[100:101], v[172:173], v[130:131]
	v_add_f64 v[118:119], v[202:203], v[142:143]
	;; [unrolled: 1-line block ×11, first 2 shown]
	v_fma_f64 v[94:95], v[76:77], s[18:19], v[80:81]
	v_fma_f64 v[80:81], v[76:77], s[40:41], v[80:81]
	v_add_f64 v[92:93], v[94:95], v[92:93]
	v_mul_f64 v[94:95], v[98:99], s[36:37]
	v_add_f64 v[80:81], v[80:81], v[84:85]
	v_mul_f64 v[84:85], v[96:97], s[20:21]
	v_fma_f64 v[144:145], v[82:83], s[20:21], v[94:95]
	v_fma_f64 v[94:95], v[82:83], s[20:21], -v[94:95]
	v_add_f64 v[100:101], v[144:145], v[100:101]
	v_fma_f64 v[144:145], v[76:77], s[50:51], v[84:85]
	v_fma_f64 v[84:85], v[76:77], s[36:37], v[84:85]
	v_add_f64 v[66:67], v[94:95], v[66:67]
	v_add_f64 v[52:53], v[144:145], v[52:53]
	v_mul_f64 v[144:145], v[98:99], s[54:55]
	v_add_f64 v[84:85], v[84:85], v[86:87]
	v_mul_f64 v[86:87], v[96:97], s[34:35]
	v_fma_f64 v[94:95], v[82:83], s[34:35], v[144:145]
	v_fma_f64 v[144:145], v[82:83], s[34:35], -v[144:145]
	v_add_f64 v[94:95], v[94:95], v[116:117]
	v_fma_f64 v[116:117], v[76:77], s[46:47], v[86:87]
	v_fma_f64 v[86:87], v[76:77], s[54:55], v[86:87]
	v_add_f64 v[104:105], v[144:145], v[104:105]
	;; [unrolled: 10-line block ×5, first 2 shown]
	v_add_f64 v[136:137], v[144:145], v[136:137]
	v_mul_f64 v[144:145], v[98:99], s[22:23]
	v_add_f64 v[88:89], v[88:89], v[124:125]
	v_mul_f64 v[124:125], v[96:97], s[16:17]
	v_mul_f64 v[98:99], v[98:99], s[38:39]
	;; [unrolled: 1-line block ×3, first 2 shown]
	v_fma_f64 v[132:133], v[82:83], s[16:17], v[144:145]
	v_fma_f64 v[144:145], v[82:83], s[16:17], -v[144:145]
	v_add_f64 v[132:133], v[132:133], v[138:139]
	v_fma_f64 v[138:139], v[76:77], s[52:53], v[124:125]
	v_fma_f64 v[124:125], v[76:77], s[22:23], v[124:125]
	v_add_f64 v[54:55], v[144:145], v[54:55]
	v_mul_f64 v[144:145], v[102:103], s[16:17]
	v_add_f64 v[138:139], v[138:139], v[140:141]
	v_add_f64 v[124:125], v[124:125], v[126:127]
	v_fma_f64 v[126:127], v[82:83], s[24:25], v[98:99]
	v_fma_f64 v[140:141], v[76:77], s[48:49], v[96:97]
	v_fma_f64 v[82:83], v[82:83], s[24:25], -v[98:99]
	v_mul_f64 v[98:99], v[72:73], s[22:23]
	v_fma_f64 v[76:77], v[76:77], s[38:39], v[96:97]
	v_add_f64 v[120:121], v[126:127], v[120:121]
	v_add_f64 v[126:127], v[140:141], v[142:143]
	v_fma_f64 v[140:141], v[68:69], s[52:53], v[144:145]
	v_fma_f64 v[96:97], v[78:79], s[16:17], v[98:99]
	v_add_f64 v[48:49], v[82:83], v[48:49]
	v_mul_f64 v[82:83], v[72:73], s[46:47]
	v_mul_f64 v[142:143], v[102:103], s[34:35]
	v_fma_f64 v[98:99], v[78:79], s[16:17], -v[98:99]
	v_add_f64 v[50:51], v[76:77], v[50:51]
	v_add_f64 v[76:77], v[96:97], v[90:91]
	;; [unrolled: 1-line block ×3, first 2 shown]
	v_fma_f64 v[92:93], v[68:69], s[22:23], v[144:145]
	v_fma_f64 v[96:97], v[78:79], s[34:35], v[82:83]
	;; [unrolled: 1-line block ×3, first 2 shown]
	v_add_f64 v[62:63], v[98:99], v[62:63]
	v_mul_f64 v[98:99], v[72:73], s[42:43]
	v_mul_f64 v[144:145], v[102:103], s[28:29]
	v_fma_f64 v[82:83], v[78:79], s[34:35], -v[82:83]
	v_add_f64 v[80:81], v[92:93], v[80:81]
	v_add_f64 v[92:93], v[96:97], v[100:101]
	;; [unrolled: 1-line block ×3, first 2 shown]
	v_fma_f64 v[96:97], v[68:69], s[46:47], v[142:143]
	v_fma_f64 v[100:101], v[78:79], s[28:29], v[98:99]
	;; [unrolled: 1-line block ×3, first 2 shown]
	v_add_f64 v[66:67], v[82:83], v[66:67]
	v_fma_f64 v[82:83], v[78:79], s[28:29], -v[98:99]
	v_mul_f64 v[98:99], v[72:73], s[6:7]
	v_mul_f64 v[142:143], v[102:103], s[0:1]
	v_add_f64 v[84:85], v[96:97], v[84:85]
	v_add_f64 v[94:95], v[100:101], v[94:95]
	;; [unrolled: 1-line block ×3, first 2 shown]
	v_fma_f64 v[100:101], v[68:69], s[42:43], v[144:145]
	v_add_f64 v[82:83], v[82:83], v[104:105]
	v_fma_f64 v[104:105], v[78:79], s[0:1], v[98:99]
	v_fma_f64 v[116:117], v[68:69], s[26:27], v[142:143]
	v_mul_f64 v[140:141], v[72:73], s[40:41]
	v_mul_f64 v[144:145], v[102:103], s[14:15]
	v_fma_f64 v[98:99], v[78:79], s[0:1], -v[98:99]
	v_fma_f64 v[142:143], v[68:69], s[6:7], v[142:143]
	v_add_f64 v[86:87], v[100:101], v[86:87]
	v_add_f64 v[100:101], v[104:105], v[128:129]
	;; [unrolled: 1-line block ×3, first 2 shown]
	v_fma_f64 v[116:117], v[78:79], s[14:15], v[140:141]
	v_fma_f64 v[122:123], v[68:69], s[18:19], v[144:145]
	v_fma_f64 v[128:129], v[78:79], s[14:15], -v[140:141]
	v_mul_f64 v[140:141], v[72:73], s[38:39]
	v_add_f64 v[98:99], v[98:99], v[106:107]
	v_mul_f64 v[106:107], v[102:103], s[24:25]
	v_add_f64 v[60:61], v[142:143], v[60:61]
	v_fma_f64 v[142:143], v[68:69], s[40:41], v[144:145]
	v_mul_f64 v[144:145], v[72:73], s[50:51]
	v_mul_f64 v[72:73], v[72:73], s[12:13]
	v_add_f64 v[116:117], v[116:117], v[118:119]
	v_add_f64 v[118:119], v[122:123], v[130:131]
	;; [unrolled: 1-line block ×3, first 2 shown]
	v_fma_f64 v[122:123], v[78:79], s[24:25], v[140:141]
	v_fma_f64 v[140:141], v[78:79], s[24:25], -v[140:141]
	v_fma_f64 v[130:131], v[68:69], s[48:49], v[106:107]
	v_mul_f64 v[128:129], v[102:103], s[20:21]
	v_fma_f64 v[106:107], v[68:69], s[38:39], v[106:107]
	v_mul_f64 v[102:103], v[102:103], s[4:5]
	v_add_f64 v[64:65], v[142:143], v[64:65]
	v_fma_f64 v[142:143], v[78:79], s[20:21], v[144:145]
	v_add_f64 v[122:123], v[122:123], v[134:135]
	v_add_f64 v[114:115], v[140:141], v[114:115]
	;; [unrolled: 1-line block ×3, first 2 shown]
	v_fma_f64 v[136:137], v[78:79], s[20:21], -v[144:145]
	v_mul_f64 v[140:141], v[58:59], s[44:45]
	v_fma_f64 v[134:135], v[68:69], s[36:37], v[128:129]
	v_mul_f64 v[144:145], v[74:75], s[28:29]
	v_fma_f64 v[128:129], v[68:69], s[50:51], v[128:129]
	v_add_f64 v[88:89], v[106:107], v[88:89]
	v_fma_f64 v[106:107], v[78:79], s[4:5], v[72:73]
	v_fma_f64 v[72:73], v[78:79], s[4:5], -v[72:73]
	v_fma_f64 v[78:79], v[68:69], s[30:31], v[102:103]
	v_add_f64 v[132:133], v[142:143], v[132:133]
	v_mul_f64 v[142:143], v[58:59], s[48:49]
	v_fma_f64 v[68:69], v[68:69], s[12:13], v[102:103]
	v_mul_f64 v[102:103], v[74:75], s[24:25]
	v_add_f64 v[54:55], v[136:137], v[54:55]
	v_fma_f64 v[136:137], v[70:71], s[28:29], v[140:141]
	v_add_f64 v[134:135], v[134:135], v[138:139]
	v_fma_f64 v[138:139], v[56:57], s[42:43], v[144:145]
	v_add_f64 v[124:125], v[128:129], v[124:125]
	v_mul_f64 v[128:129], v[58:59], s[12:13]
	v_add_f64 v[106:107], v[106:107], v[120:121]
	v_fma_f64 v[120:121], v[70:71], s[28:29], -v[140:141]
	v_mul_f64 v[140:141], v[74:75], s[4:5]
	v_fma_f64 v[144:145], v[56:57], s[44:45], v[144:145]
	v_add_f64 v[78:79], v[78:79], v[126:127]
	v_add_f64 v[48:49], v[72:73], v[48:49]
	v_mul_f64 v[72:73], v[58:59], s[40:41]
	v_fma_f64 v[126:127], v[70:71], s[24:25], v[142:143]
	v_add_f64 v[50:51], v[68:69], v[50:51]
	v_fma_f64 v[68:69], v[56:57], s[38:39], v[102:103]
	v_fma_f64 v[102:103], v[56:57], s[48:49], v[102:103]
	v_add_f64 v[76:77], v[136:137], v[76:77]
	v_fma_f64 v[136:137], v[70:71], s[24:25], -v[142:143]
	v_mul_f64 v[142:143], v[74:75], s[14:15]
	v_add_f64 v[90:91], v[138:139], v[90:91]
	v_fma_f64 v[138:139], v[70:71], s[4:5], v[128:129]
	v_fma_f64 v[128:129], v[70:71], s[4:5], -v[128:129]
	v_add_f64 v[62:63], v[120:121], v[62:63]
	v_fma_f64 v[120:121], v[56:57], s[30:31], v[140:141]
	v_add_f64 v[80:81], v[144:145], v[80:81]
	v_fma_f64 v[140:141], v[56:57], s[12:13], v[140:141]
	v_fma_f64 v[144:145], v[70:71], s[14:15], v[72:73]
	v_add_f64 v[92:93], v[126:127], v[92:93]
	v_mul_f64 v[126:127], v[58:59], s[46:47]
	v_add_f64 v[52:53], v[68:69], v[52:53]
	v_mul_f64 v[68:69], v[74:75], s[34:35]
	v_add_f64 v[84:85], v[102:103], v[84:85]
	v_fma_f64 v[72:73], v[70:71], s[14:15], -v[72:73]
	v_add_f64 v[66:67], v[136:137], v[66:67]
	v_fma_f64 v[102:103], v[56:57], s[18:19], v[142:143]
	v_mul_f64 v[136:137], v[58:59], s[52:53]
	v_add_f64 v[94:95], v[138:139], v[94:95]
	v_add_f64 v[82:83], v[128:129], v[82:83]
	v_fma_f64 v[128:129], v[56:57], s[40:41], v[142:143]
	v_add_f64 v[96:97], v[120:121], v[96:97]
	v_mul_f64 v[120:121], v[74:75], s[16:17]
	v_add_f64 v[86:87], v[140:141], v[86:87]
	v_add_f64 v[140:141], v[36:37], v[40:41]
	v_add_f64 v[100:101], v[144:145], v[100:101]
	v_add_f64 v[142:143], v[38:39], v[42:43]
	v_fma_f64 v[138:139], v[70:71], s[34:35], v[126:127]
	v_add_f64 v[36:37], v[36:37], -v[40:41]
	v_add_f64 v[38:39], v[38:39], -v[42:43]
	v_mul_f64 v[40:41], v[58:59], s[26:27]
	v_mul_f64 v[42:43], v[74:75], s[0:1]
	v_fma_f64 v[144:145], v[56:57], s[54:55], v[68:69]
	v_fma_f64 v[126:127], v[70:71], s[34:35], -v[126:127]
	v_fma_f64 v[68:69], v[56:57], s[46:47], v[68:69]
	v_mul_f64 v[58:59], v[58:59], s[36:37]
	v_add_f64 v[72:73], v[72:73], v[98:99]
	v_mul_f64 v[74:75], v[74:75], s[20:21]
	v_add_f64 v[102:103], v[102:103], v[104:105]
	v_fma_f64 v[104:105], v[70:71], s[16:17], v[136:137]
	v_fma_f64 v[136:137], v[70:71], s[16:17], -v[136:137]
	v_add_f64 v[60:61], v[128:129], v[60:61]
	v_fma_f64 v[98:99], v[56:57], s[22:23], v[120:121]
	v_fma_f64 v[120:121], v[56:57], s[52:53], v[120:121]
	v_add_f64 v[116:117], v[138:139], v[116:117]
	v_fma_f64 v[128:129], v[70:71], s[0:1], v[40:41]
	v_fma_f64 v[138:139], v[56:57], s[6:7], v[42:43]
	v_add_f64 v[118:119], v[144:145], v[118:119]
	v_add_f64 v[112:113], v[126:127], v[112:113]
	v_mul_f64 v[126:127], v[38:39], s[36:37]
	v_fma_f64 v[40:41], v[70:71], s[0:1], -v[40:41]
	v_mul_f64 v[144:145], v[142:143], s[20:21]
	v_add_f64 v[64:65], v[68:69], v[64:65]
	v_fma_f64 v[42:43], v[56:57], s[26:27], v[42:43]
	v_add_f64 v[68:69], v[104:105], v[122:123]
	v_mul_f64 v[104:105], v[38:39], s[42:43]
	v_fma_f64 v[122:123], v[70:71], s[20:21], v[58:59]
	v_add_f64 v[114:115], v[136:137], v[114:115]
	v_fma_f64 v[136:137], v[56:57], s[50:51], v[74:75]
	v_add_f64 v[98:99], v[98:99], v[130:131]
	v_mul_f64 v[130:131], v[142:143], s[28:29]
	v_add_f64 v[88:89], v[120:121], v[88:89]
	v_fma_f64 v[58:59], v[70:71], s[20:21], -v[58:59]
	v_mul_f64 v[70:71], v[38:39], s[26:27]
	v_fma_f64 v[56:57], v[56:57], s[36:37], v[74:75]
	v_mul_f64 v[74:75], v[142:143], s[0:1]
	v_add_f64 v[120:121], v[128:129], v[132:133]
	v_add_f64 v[128:129], v[138:139], v[134:135]
	v_fma_f64 v[132:133], v[140:141], s[20:21], v[126:127]
	v_add_f64 v[40:41], v[40:41], v[54:55]
	v_fma_f64 v[54:55], v[36:37], s[50:51], v[144:145]
	v_fma_f64 v[126:127], v[140:141], s[20:21], -v[126:127]
	v_add_f64 v[42:43], v[42:43], v[124:125]
	v_fma_f64 v[124:125], v[36:37], s[36:37], v[144:145]
	v_fma_f64 v[134:135], v[140:141], s[28:29], v[104:105]
	v_add_f64 v[106:107], v[122:123], v[106:107]
	v_mul_f64 v[122:123], v[38:39], s[38:39]
	v_mul_f64 v[144:145], v[142:143], s[24:25]
	v_fma_f64 v[104:105], v[140:141], s[28:29], -v[104:105]
	v_fma_f64 v[138:139], v[36:37], s[44:45], v[130:131]
	v_add_f64 v[78:79], v[136:137], v[78:79]
	v_fma_f64 v[130:131], v[36:37], s[42:43], v[130:131]
	v_add_f64 v[48:49], v[58:59], v[48:49]
	v_fma_f64 v[58:59], v[140:141], s[0:1], v[70:71]
	v_mul_f64 v[136:137], v[38:39], s[52:53]
	v_add_f64 v[50:51], v[56:57], v[50:51]
	v_fma_f64 v[56:57], v[36:37], s[6:7], v[74:75]
	v_fma_f64 v[70:71], v[140:141], s[0:1], -v[70:71]
	v_fma_f64 v[74:75], v[36:37], s[26:27], v[74:75]
	v_add_f64 v[76:77], v[132:133], v[76:77]
	v_mul_f64 v[132:133], v[142:143], s[16:17]
	v_add_f64 v[54:55], v[54:55], v[90:91]
	v_add_f64 v[62:63], v[126:127], v[62:63]
	v_mul_f64 v[126:127], v[38:39], s[30:31]
	v_add_f64 v[80:81], v[124:125], v[80:81]
	v_add_f64 v[90:91], v[134:135], v[92:93]
	v_add_f64 v[134:135], v[30:31], -v[34:35]
	v_fma_f64 v[92:93], v[140:141], s[24:25], v[122:123]
	v_fma_f64 v[124:125], v[36:37], s[48:49], v[144:145]
	v_add_f64 v[66:67], v[104:105], v[66:67]
	v_add_f64 v[52:53], v[138:139], v[52:53]
	v_mul_f64 v[104:105], v[142:143], s[4:5]
	v_fma_f64 v[122:123], v[140:141], s[24:25], -v[122:123]
	v_add_f64 v[84:85], v[130:131], v[84:85]
	v_fma_f64 v[130:131], v[36:37], s[38:39], v[144:145]
	v_add_f64 v[58:59], v[58:59], v[94:95]
	v_fma_f64 v[94:95], v[140:141], s[16:17], v[136:137]
	v_mul_f64 v[138:139], v[38:39], s[46:47]
	v_add_f64 v[56:57], v[56:57], v[96:97]
	v_add_f64 v[30:31], v[30:31], v[34:35]
	;; [unrolled: 1-line block ×3, first 2 shown]
	v_mul_f64 v[82:83], v[142:143], s[34:35]
	v_fma_f64 v[70:71], v[36:37], s[22:23], v[132:133]
	v_fma_f64 v[96:97], v[140:141], s[16:17], -v[136:137]
	v_add_f64 v[74:75], v[74:75], v[86:87]
	v_fma_f64 v[132:133], v[36:37], s[52:53], v[132:133]
	v_mul_f64 v[38:39], v[38:39], s[18:19]
	v_add_f64 v[86:87], v[92:93], v[100:101]
	v_add_f64 v[92:93], v[124:125], v[102:103]
	v_fma_f64 v[100:101], v[140:141], s[4:5], v[126:127]
	v_mul_f64 v[102:103], v[142:143], s[14:15]
	v_fma_f64 v[124:125], v[36:37], s[12:13], v[104:105]
	v_fma_f64 v[126:127], v[140:141], s[4:5], -v[126:127]
	v_add_f64 v[72:73], v[122:123], v[72:73]
	v_add_f64 v[60:61], v[130:131], v[60:61]
	v_fma_f64 v[104:105], v[36:37], s[30:31], v[104:105]
	v_add_f64 v[122:123], v[28:29], v[32:33]
	v_mul_f64 v[130:131], v[134:135], s[38:39]
	v_fma_f64 v[136:137], v[140:141], s[34:35], v[138:139]
	v_add_f64 v[32:33], v[28:29], -v[32:33]
	v_mul_f64 v[28:29], v[30:31], s[24:25]
	v_add_f64 v[94:95], v[94:95], v[116:117]
	v_add_f64 v[70:71], v[70:71], v[118:119]
	v_fma_f64 v[116:117], v[36:37], s[54:55], v[82:83]
	v_add_f64 v[96:97], v[96:97], v[112:113]
	v_fma_f64 v[112:113], v[140:141], s[34:35], -v[138:139]
	v_mul_f64 v[118:119], v[134:135], s[18:19]
	v_mul_f64 v[138:139], v[30:31], s[14:15]
	v_add_f64 v[64:65], v[132:133], v[64:65]
	v_fma_f64 v[82:83], v[36:37], s[46:47], v[82:83]
	v_fma_f64 v[132:133], v[140:141], s[14:15], v[38:39]
	v_add_f64 v[68:69], v[100:101], v[68:69]
	v_fma_f64 v[100:101], v[36:37], s[40:41], v[102:103]
	v_add_f64 v[98:99], v[124:125], v[98:99]
	v_add_f64 v[114:115], v[126:127], v[114:115]
	v_fma_f64 v[38:39], v[140:141], s[14:15], -v[38:39]
	v_fma_f64 v[36:37], v[36:37], s[18:19], v[102:103]
	v_mul_f64 v[102:103], v[134:135], s[22:23]
	v_mul_f64 v[124:125], v[30:31], s[16:17]
	v_fma_f64 v[126:127], v[122:123], s[24:25], v[130:131]
	v_add_f64 v[88:89], v[104:105], v[88:89]
	v_add_f64 v[104:105], v[136:137], v[120:121]
	v_fma_f64 v[120:121], v[32:33], s[48:49], v[28:29]
	v_fma_f64 v[130:131], v[122:123], s[24:25], -v[130:131]
	v_mul_f64 v[136:137], v[134:135], s[50:51]
	v_add_f64 v[116:117], v[116:117], v[128:129]
	v_mul_f64 v[128:129], v[30:31], s[20:21]
	v_add_f64 v[40:41], v[112:113], v[40:41]
	v_fma_f64 v[28:29], v[32:33], s[38:39], v[28:29]
	v_fma_f64 v[112:113], v[122:123], s[14:15], v[118:119]
	v_add_f64 v[42:43], v[82:83], v[42:43]
	v_add_f64 v[82:83], v[132:133], v[106:107]
	v_fma_f64 v[106:107], v[32:33], s[40:41], v[138:139]
	v_add_f64 v[78:79], v[100:101], v[78:79]
	v_fma_f64 v[100:101], v[122:123], s[14:15], -v[118:119]
	v_fma_f64 v[118:119], v[32:33], s[18:19], v[138:139]
	v_mul_f64 v[132:133], v[134:135], s[26:27]
	v_add_f64 v[38:39], v[38:39], v[48:49]
	v_add_f64 v[36:37], v[36:37], v[50:51]
	v_fma_f64 v[48:49], v[122:123], s[16:17], v[102:103]
	v_fma_f64 v[50:51], v[32:33], s[52:53], v[124:125]
	v_add_f64 v[76:77], v[126:127], v[76:77]
	v_fma_f64 v[102:103], v[122:123], s[16:17], -v[102:103]
	v_fma_f64 v[124:125], v[32:33], s[22:23], v[124:125]
	v_add_f64 v[54:55], v[120:121], v[54:55]
	v_add_f64 v[62:63], v[130:131], v[62:63]
	v_fma_f64 v[120:121], v[122:123], s[20:21], v[136:137]
	v_mul_f64 v[126:127], v[30:31], s[0:1]
	v_fma_f64 v[130:131], v[32:33], s[36:37], v[128:129]
	v_add_f64 v[28:29], v[28:29], v[80:81]
	v_add_f64 v[80:81], v[112:113], v[90:91]
	v_fma_f64 v[90:91], v[32:33], s[50:51], v[128:129]
	v_mul_f64 v[112:113], v[134:135], s[46:47]
	v_mul_f64 v[128:129], v[30:31], s[34:35]
	v_add_f64 v[52:53], v[106:107], v[52:53]
	v_mul_f64 v[138:139], v[30:31], s[4:5]
	v_add_f64 v[66:67], v[100:101], v[66:67]
	v_add_f64 v[100:101], v[118:119], v[84:85]
	v_add_f64 v[118:119], v[22:23], -v[26:27]
	v_fma_f64 v[106:107], v[122:123], s[0:1], v[132:133]
	v_add_f64 v[26:27], v[22:23], v[26:27]
	v_mul_f64 v[84:85], v[134:135], s[12:13]
	v_add_f64 v[48:49], v[48:49], v[58:59]
	v_add_f64 v[50:51], v[50:51], v[56:57]
	v_mul_f64 v[22:23], v[134:135], s[44:45]
	v_add_f64 v[56:57], v[102:103], v[34:35]
	;; [unrolled: 3-line block ×3, first 2 shown]
	v_fma_f64 v[74:75], v[32:33], s[6:7], v[126:127]
	v_add_f64 v[86:87], v[130:131], v[92:93]
	v_fma_f64 v[92:93], v[122:123], s[0:1], -v[132:133]
	v_fma_f64 v[102:103], v[32:33], s[26:27], v[126:127]
	v_add_f64 v[120:121], v[90:91], v[60:61]
	v_fma_f64 v[60:61], v[122:123], s[34:35], v[112:113]
	v_add_f64 v[124:125], v[20:21], v[24:25]
	v_fma_f64 v[136:137], v[122:123], s[20:21], -v[136:137]
	v_add_f64 v[130:131], v[20:21], -v[24:25]
	v_fma_f64 v[20:21], v[32:33], s[30:31], v[138:139]
	v_mul_f64 v[126:127], v[118:119], s[46:47]
	v_add_f64 v[90:91], v[106:107], v[94:95]
	v_fma_f64 v[94:95], v[32:33], s[54:55], v[128:129]
	v_mul_f64 v[132:133], v[26:27], s[34:35]
	v_fma_f64 v[106:107], v[122:123], s[34:35], -v[112:113]
	v_fma_f64 v[112:113], v[32:33], s[46:47], v[128:129]
	v_fma_f64 v[128:129], v[122:123], s[4:5], v[84:85]
	v_fma_f64 v[24:25], v[122:123], s[4:5], -v[84:85]
	v_fma_f64 v[84:85], v[32:33], s[12:13], v[138:139]
	v_fma_f64 v[134:135], v[122:123], s[28:29], v[22:23]
	v_mul_f64 v[140:141], v[26:27], s[24:25]
	v_add_f64 v[70:71], v[74:75], v[70:71]
	v_mul_f64 v[74:75], v[26:27], s[0:1]
	v_add_f64 v[92:93], v[92:93], v[96:97]
	v_add_f64 v[96:97], v[102:103], v[64:65]
	v_mul_f64 v[102:103], v[26:27], s[4:5]
	v_add_f64 v[68:69], v[60:61], v[68:69]
	v_fma_f64 v[60:61], v[32:33], s[42:43], v[30:31]
	v_mul_f64 v[142:143], v[26:27], s[20:21]
	v_add_f64 v[72:73], v[136:137], v[72:73]
	v_mul_f64 v[136:137], v[118:119], s[6:7]
	v_fma_f64 v[22:23], v[122:123], s[28:29], -v[22:23]
	v_fma_f64 v[144:145], v[124:125], s[34:35], v[126:127]
	v_mul_f64 v[138:139], v[118:119], s[38:39]
	v_add_f64 v[94:95], v[94:95], v[98:99]
	v_fma_f64 v[98:99], v[130:131], s[54:55], v[132:133]
	v_mul_f64 v[122:123], v[118:119], s[36:37]
	v_mul_f64 v[64:65], v[118:119], s[12:13]
	v_add_f64 v[106:107], v[106:107], v[114:115]
	v_add_f64 v[112:113], v[112:113], v[88:89]
	;; [unrolled: 1-line block ×5, first 2 shown]
	v_fma_f64 v[128:129], v[130:131], s[48:49], v[140:141]
	v_fma_f64 v[40:41], v[130:131], s[26:27], v[74:75]
	;; [unrolled: 1-line block ×3, first 2 shown]
	v_add_f64 v[42:43], v[84:85], v[42:43]
	v_add_f64 v[84:85], v[134:135], v[82:83]
	v_mul_f64 v[150:151], v[26:27], s[16:17]
	v_add_f64 v[134:135], v[60:61], v[78:79]
	v_fma_f64 v[78:79], v[130:131], s[30:31], v[102:103]
	v_fma_f64 v[82:83], v[130:131], s[50:51], v[142:143]
	;; [unrolled: 1-line block ×3, first 2 shown]
	v_add_f64 v[148:149], v[22:23], v[38:39]
	v_add_f64 v[20:21], v[144:145], v[76:77]
	v_mul_f64 v[76:77], v[118:119], s[18:19]
	v_mul_f64 v[144:145], v[26:27], s[14:15]
	v_add_f64 v[22:23], v[98:99], v[54:55]
	v_mul_f64 v[54:55], v[118:119], s[44:45]
	v_mul_f64 v[98:99], v[26:27], s[28:29]
	v_fma_f64 v[116:117], v[124:125], s[24:25], v[138:139]
	v_fma_f64 v[38:39], v[124:125], s[20:21], v[122:123]
	v_mul_f64 v[118:119], v[118:119], s[52:53]
	v_fma_f64 v[60:61], v[124:125], s[4:5], v[64:65]
	v_fma_f64 v[102:103], v[130:131], s[12:13], v[102:103]
	v_add_f64 v[32:33], v[128:129], v[50:51]
	v_add_f64 v[26:27], v[40:41], v[52:53]
	;; [unrolled: 1-line block ×3, first 2 shown]
	v_fma_f64 v[52:53], v[124:125], s[0:1], -v[136:137]
	v_fma_f64 v[128:129], v[130:131], s[38:39], v[140:141]
	v_fma_f64 v[136:137], v[130:131], s[6:7], v[74:75]
	v_add_f64 v[36:37], v[78:79], v[86:87]
	v_add_f64 v[40:41], v[82:83], v[70:71]
	;; [unrolled: 1-line block ×3, first 2 shown]
	v_fma_f64 v[80:81], v[124:125], s[24:25], -v[138:139]
	v_fma_f64 v[70:71], v[124:125], s[14:15], v[76:77]
	v_fma_f64 v[78:79], v[130:131], s[40:41], v[144:145]
	v_fma_f64 v[76:77], v[124:125], s[14:15], -v[76:77]
	v_fma_f64 v[82:83], v[124:125], s[28:29], v[54:55]
	v_fma_f64 v[86:87], v[130:131], s[42:43], v[98:99]
	v_add_f64 v[30:31], v[116:117], v[48:49]
	v_add_f64 v[38:39], v[38:39], v[90:91]
	v_fma_f64 v[90:91], v[124:125], s[16:17], v[118:119]
	v_fma_f64 v[116:117], v[130:131], s[22:23], v[150:151]
	v_add_f64 v[34:35], v[60:61], v[34:35]
	v_fma_f64 v[60:61], v[124:125], s[4:5], -v[64:65]
	v_fma_f64 v[64:65], v[124:125], s[20:21], -v[122:123]
	;; [unrolled: 1-line block ×3, first 2 shown]
	v_fma_f64 v[122:123], v[130:131], s[52:53], v[150:151]
	v_fma_f64 v[54:55], v[124:125], s[28:29], -v[54:55]
	v_fma_f64 v[98:99], v[130:131], s[44:45], v[98:99]
	v_fma_f64 v[48:49], v[124:125], s[34:35], -v[126:127]
	v_fma_f64 v[124:125], v[130:131], s[18:19], v[144:145]
	v_fma_f64 v[126:127], v[130:131], s[36:37], v[142:143]
	;; [unrolled: 1-line block ×3, first 2 shown]
	v_add_f64 v[56:57], v[80:81], v[56:57]
	v_add_f64 v[52:53], v[52:53], v[66:67]
	;; [unrolled: 1-line block ×22, first 2 shown]
	v_add_nc_u32_e32 v77, 0x110, v109
	v_add_nc_u32_e32 v76, 0x220, v109
	ds_write_b128 v111, v[44:47]
	ds_write_b128 v111, v[20:23] offset:16
	ds_write_b128 v111, v[24:27] offset:32
	;; [unrolled: 1-line block ×16, first 2 shown]
	s_and_saveexec_b32 s33, vcc_lo
	s_cbranch_execz .LBB0_13
; %bb.12:
	s_clause 0x27
	buffer_load_dword v98, off, s[60:63], 0 offset:100
	buffer_load_dword v99, off, s[60:63], 0 offset:104
	;; [unrolled: 1-line block ×40, first 2 shown]
	v_add_f64 v[20:21], v[14:15], v[2:3]
	v_add_f64 v[22:23], v[12:13], v[0:1]
	;; [unrolled: 1-line block ×12, first 2 shown]
	s_waitcnt vmcnt(36)
	v_add_f64 v[20:21], v[100:101], v[20:21]
	v_add_f64 v[22:23], v[98:99], v[22:23]
	s_waitcnt vmcnt(30)
	v_add_f64 v[24:25], v[28:29], -v[111:112]
	s_waitcnt vmcnt(26)
	v_add_f64 v[34:35], v[98:99], -v[102:103]
	s_waitcnt vmcnt(24)
	v_add_f64 v[26:27], v[100:101], v[104:105]
	s_waitcnt vmcnt(18)
	v_add_f64 v[44:45], v[16:17], -v[72:73]
	s_waitcnt vmcnt(14)
	v_add_f64 v[78:79], v[12:13], -v[125:126]
	;; [unrolled: 2-line block ×5, first 2 shown]
	v_add_f64 v[14:15], v[14:15], v[127:128]
	v_add_f64 v[70:71], v[96:97], v[10:11]
	;; [unrolled: 1-line block ×3, first 2 shown]
	v_add_f64 v[40:41], v[252:253], -v[66:67]
	v_add_f64 v[32:33], v[254:255], v[68:69]
	v_add_f64 v[42:43], v[74:75], v[18:19]
	v_add_f64 v[50:51], v[248:249], -v[88:89]
	v_add_f64 v[52:53], v[250:251], v[90:91]
	s_waitcnt vmcnt(2)
	v_add_f64 v[56:57], v[4:5], -v[84:85]
	v_add_f64 v[12:13], v[12:13], v[125:126]
	s_waitcnt vmcnt(0)
	v_add_f64 v[64:65], v[86:87], v[6:7]
	v_add_f64 v[36:37], v[100:101], -v[104:105]
	v_add_f64 v[20:21], v[30:31], v[20:21]
	v_add_f64 v[22:23], v[28:29], v[22:23]
	v_add_f64 v[54:55], v[18:19], -v[74:75]
	v_add_f64 v[62:63], v[248:249], v[88:89]
	v_mul_f64 v[160:161], v[24:25], s[52:53]
	v_mul_f64 v[16:17], v[78:79], s[36:37]
	;; [unrolled: 1-line block ×5, first 2 shown]
	v_add_f64 v[20:21], v[113:114], v[20:21]
	v_add_f64 v[22:23], v[111:112], v[22:23]
	v_fma_f64 v[131:132], v[12:13], s[4:5], v[100:101]
	v_fma_f64 v[100:101], v[12:13], s[4:5], -v[100:101]
	v_add_f64 v[20:21], v[104:105], v[20:21]
	v_add_f64 v[22:23], v[102:103], v[22:23]
	v_add_f64 v[131:132], v[131:132], v[0:1]
	v_add_f64 v[100:101], v[100:101], v[0:1]
	v_add_f64 v[20:21], v[68:69], v[20:21]
	v_add_f64 v[22:23], v[66:67], v[22:23]
	v_add_f64 v[20:21], v[74:75], v[20:21]
	v_add_f64 v[22:23], v[72:73], v[22:23]
	v_add_f64 v[72:73], v[94:95], v[8:9]
	v_mul_f64 v[8:9], v[78:79], s[38:39]
	v_add_f64 v[74:75], v[84:85], v[4:5]
	v_mul_f64 v[4:5], v[78:79], s[22:23]
	v_add_f64 v[38:39], v[90:91], v[20:21]
	v_add_f64 v[46:47], v[88:89], v[22:23]
	;; [unrolled: 1-line block ×4, first 2 shown]
	v_mul_f64 v[88:89], v[80:81], s[46:47]
	v_mul_f64 v[98:99], v[80:81], s[40:41]
	v_fma_f64 v[106:107], v[14:15], s[24:25], v[8:9]
	v_fma_f64 v[8:9], v[14:15], s[24:25], -v[8:9]
	v_add_f64 v[20:21], v[30:31], v[113:114]
	v_add_f64 v[30:31], v[30:31], -v[113:114]
	v_fma_f64 v[111:112], v[14:15], s[20:21], v[16:17]
	v_fma_f64 v[16:17], v[14:15], s[20:21], -v[16:17]
	v_fma_f64 v[113:114], v[14:15], s[28:29], -v[18:19]
	v_fma_f64 v[18:19], v[14:15], s[28:29], v[18:19]
	v_fma_f64 v[115:116], v[14:15], s[16:17], v[4:5]
	v_fma_f64 v[117:118], v[14:15], s[16:17], -v[4:5]
	v_add_f64 v[10:11], v[86:87], v[38:39]
	v_add_f64 v[82:83], v[84:85], v[46:47]
	;; [unrolled: 1-line block ×3, first 2 shown]
	v_add_f64 v[46:47], v[254:255], -v[68:69]
	v_add_f64 v[68:69], v[6:7], -v[86:87]
	v_mul_f64 v[6:7], v[78:79], s[46:47]
	v_add_f64 v[66:67], v[250:251], -v[90:91]
	v_mul_f64 v[84:85], v[78:79], s[40:41]
	v_mul_f64 v[86:87], v[78:79], s[30:31]
	;; [unrolled: 1-line block ×4, first 2 shown]
	v_fma_f64 v[123:124], v[12:13], s[34:35], -v[88:89]
	v_fma_f64 v[88:89], v[12:13], s[34:35], v[88:89]
	v_fma_f64 v[129:130], v[12:13], s[14:15], -v[98:99]
	v_fma_f64 v[98:99], v[12:13], s[14:15], v[98:99]
	v_add_f64 v[135:136], v[8:9], v[2:3]
	v_mul_f64 v[8:9], v[60:61], s[6:7]
	v_add_f64 v[106:107], v[106:107], v[2:3]
	v_add_f64 v[111:112], v[111:112], v[2:3]
	;; [unrolled: 1-line block ×7, first 2 shown]
	v_mul_f64 v[94:95], v[80:81], s[44:45]
	v_mul_f64 v[96:97], v[80:81], s[22:23]
	;; [unrolled: 1-line block ×3, first 2 shown]
	v_fma_f64 v[102:103], v[14:15], s[34:35], v[6:7]
	v_fma_f64 v[104:105], v[14:15], s[34:35], -v[6:7]
	v_fma_f64 v[119:120], v[14:15], s[14:15], v[84:85]
	v_fma_f64 v[84:85], v[14:15], s[14:15], -v[84:85]
	v_fma_f64 v[121:122], v[14:15], s[4:5], -v[86:87]
	v_fma_f64 v[86:87], v[14:15], s[4:5], v[86:87]
	v_add_f64 v[115:116], v[115:116], v[2:3]
	v_add_f64 v[88:89], v[88:89], v[0:1]
	;; [unrolled: 1-line block ×5, first 2 shown]
	v_mul_f64 v[162:163], v[30:31], s[52:53]
	v_add_f64 v[6:7], v[127:128], v[10:11]
	v_add_f64 v[4:5], v[125:126], v[82:83]
	v_fma_f64 v[10:11], v[12:13], s[24:25], -v[90:91]
	v_fma_f64 v[82:83], v[14:15], s[0:1], -v[78:79]
	v_fma_f64 v[90:91], v[12:13], s[24:25], v[90:91]
	v_fma_f64 v[125:126], v[12:13], s[20:21], -v[92:93]
	v_fma_f64 v[14:15], v[14:15], s[0:1], v[78:79]
	v_fma_f64 v[78:79], v[12:13], s[20:21], v[92:93]
	v_fma_f64 v[92:93], v[12:13], s[28:29], -v[94:95]
	v_fma_f64 v[94:95], v[12:13], s[28:29], v[94:95]
	v_fma_f64 v[127:128], v[12:13], s[16:17], -v[96:97]
	v_fma_f64 v[96:97], v[12:13], s[16:17], v[96:97]
	v_fma_f64 v[133:134], v[12:13], s[0:1], v[80:81]
	v_fma_f64 v[12:13], v[12:13], s[0:1], -v[80:81]
	v_add_f64 v[80:81], v[102:103], v[2:3]
	v_add_f64 v[102:103], v[123:124], v[0:1]
	;; [unrolled: 1-line block ×8, first 2 shown]
	v_mul_f64 v[10:11], v[58:59], s[6:7]
	v_add_f64 v[90:91], v[90:91], v[0:1]
	v_add_f64 v[125:126], v[125:126], v[0:1]
	;; [unrolled: 1-line block ×10, first 2 shown]
	v_fma_f64 v[0:1], v[70:71], s[0:1], v[8:9]
	v_mul_f64 v[12:13], v[56:57], s[38:39]
	v_add_f64 v[82:83], v[82:83], v[2:3]
	v_fma_f64 v[8:9], v[70:71], s[0:1], -v[8:9]
	v_fma_f64 v[2:3], v[72:73], s[0:1], -v[10:11]
	v_fma_f64 v[10:11], v[72:73], s[0:1], v[10:11]
	v_add_f64 v[0:1], v[0:1], v[80:81]
	v_fma_f64 v[14:15], v[64:65], s[24:25], v[12:13]
	v_fma_f64 v[12:13], v[64:65], s[24:25], -v[12:13]
	v_add_f64 v[8:9], v[8:9], v[104:105]
	v_add_f64 v[2:3], v[102:103], v[2:3]
	;; [unrolled: 1-line block ×4, first 2 shown]
	v_mul_f64 v[14:15], v[68:69], s[38:39]
	v_add_f64 v[8:9], v[12:13], v[8:9]
	v_fma_f64 v[16:17], v[74:75], s[24:25], -v[14:15]
	v_fma_f64 v[12:13], v[74:75], s[24:25], v[14:15]
	v_fma_f64 v[14:15], v[22:23], s[16:17], v[162:163]
	v_add_f64 v[2:3], v[16:17], v[2:3]
	v_mul_f64 v[16:17], v[50:51], s[12:13]
	v_add_f64 v[10:11], v[12:13], v[10:11]
	v_fma_f64 v[18:19], v[52:53], s[4:5], v[16:17]
	v_fma_f64 v[12:13], v[52:53], s[4:5], -v[16:17]
	v_mul_f64 v[16:17], v[60:61], s[18:19]
	v_add_f64 v[0:1], v[18:19], v[0:1]
	v_mul_f64 v[18:19], v[66:67], s[12:13]
	v_add_f64 v[8:9], v[12:13], v[8:9]
	v_fma_f64 v[78:79], v[62:63], s[4:5], -v[18:19]
	v_fma_f64 v[12:13], v[62:63], s[4:5], v[18:19]
	v_mul_f64 v[18:19], v[58:59], s[18:19]
	v_add_f64 v[2:3], v[78:79], v[2:3]
	v_mul_f64 v[78:79], v[44:45], s[36:37]
	v_add_f64 v[10:11], v[12:13], v[10:11]
	v_fma_f64 v[80:81], v[42:43], s[20:21], v[78:79]
	v_fma_f64 v[12:13], v[42:43], s[20:21], -v[78:79]
	v_mul_f64 v[78:79], v[56:57], s[22:23]
	v_add_f64 v[0:1], v[80:81], v[0:1]
	v_mul_f64 v[80:81], v[54:55], s[36:37]
	v_add_f64 v[8:9], v[12:13], v[8:9]
	v_fma_f64 v[102:103], v[48:49], s[20:21], -v[80:81]
	v_fma_f64 v[12:13], v[48:49], s[20:21], v[80:81]
	v_fma_f64 v[80:81], v[64:65], s[16:17], v[78:79]
	v_fma_f64 v[78:79], v[64:65], s[16:17], -v[78:79]
	v_add_f64 v[2:3], v[102:103], v[2:3]
	v_mul_f64 v[102:103], v[40:41], s[18:19]
	v_add_f64 v[10:11], v[12:13], v[10:11]
	v_fma_f64 v[147:148], v[32:33], s[14:15], v[102:103]
	v_fma_f64 v[12:13], v[32:33], s[14:15], -v[102:103]
	v_add_f64 v[0:1], v[147:148], v[0:1]
	v_mul_f64 v[147:148], v[46:47], s[18:19]
	v_add_f64 v[8:9], v[12:13], v[8:9]
	v_fma_f64 v[149:150], v[38:39], s[14:15], -v[147:148]
	v_fma_f64 v[12:13], v[38:39], s[14:15], v[147:148]
	v_add_f64 v[2:3], v[149:150], v[2:3]
	v_mul_f64 v[149:150], v[34:35], s[44:45]
	v_add_f64 v[10:11], v[12:13], v[10:11]
	v_fma_f64 v[156:157], v[26:27], s[28:29], v[149:150]
	v_fma_f64 v[12:13], v[26:27], s[28:29], -v[149:150]
	v_add_f64 v[0:1], v[156:157], v[0:1]
	v_mul_f64 v[156:157], v[36:37], s[44:45]
	v_add_f64 v[8:9], v[12:13], v[8:9]
	v_fma_f64 v[12:13], v[28:29], s[28:29], v[156:157]
	v_fma_f64 v[158:159], v[28:29], s[28:29], -v[156:157]
	v_add_f64 v[12:13], v[12:13], v[10:11]
	v_fma_f64 v[10:11], v[20:21], s[16:17], -v[160:161]
	v_add_f64 v[158:159], v[158:159], v[2:3]
	v_fma_f64 v[2:3], v[20:21], s[16:17], v[160:161]
	v_mul_f64 v[160:161], v[24:25], s[44:45]
	v_add_f64 v[10:11], v[10:11], v[8:9]
	v_add_f64 v[8:9], v[14:15], v[12:13]
	v_fma_f64 v[12:13], v[70:71], s[14:15], v[16:17]
	v_fma_f64 v[14:15], v[72:73], s[14:15], -v[18:19]
	v_fma_f64 v[16:17], v[70:71], s[14:15], -v[16:17]
	v_fma_f64 v[18:19], v[72:73], s[14:15], v[18:19]
	v_add_f64 v[2:3], v[2:3], v[0:1]
	v_fma_f64 v[0:1], v[22:23], s[16:17], -v[162:163]
	v_mul_f64 v[162:163], v[30:31], s[44:45]
	v_add_f64 v[12:13], v[12:13], v[106:107]
	v_add_f64 v[14:15], v[123:124], v[14:15]
	v_add_f64 v[16:17], v[16:17], v[135:136]
	v_add_f64 v[18:19], v[90:91], v[18:19]
	v_mul_f64 v[90:91], v[58:59], s[42:43]
	v_add_f64 v[0:1], v[0:1], v[158:159]
	v_add_f64 v[12:13], v[80:81], v[12:13]
	v_mul_f64 v[80:81], v[68:69], s[22:23]
	v_add_f64 v[16:17], v[78:79], v[16:17]
	v_fma_f64 v[88:89], v[74:75], s[16:17], -v[80:81]
	v_fma_f64 v[78:79], v[74:75], s[16:17], v[80:81]
	v_fma_f64 v[80:81], v[22:23], s[28:29], v[162:163]
	v_add_f64 v[14:15], v[88:89], v[14:15]
	v_mul_f64 v[88:89], v[50:51], s[50:51]
	v_add_f64 v[18:19], v[78:79], v[18:19]
	v_fma_f64 v[102:103], v[52:53], s[20:21], v[88:89]
	v_fma_f64 v[78:79], v[52:53], s[20:21], -v[88:89]
	v_mul_f64 v[88:89], v[60:61], s[42:43]
	v_add_f64 v[12:13], v[102:103], v[12:13]
	v_mul_f64 v[102:103], v[66:67], s[50:51]
	v_add_f64 v[16:17], v[78:79], v[16:17]
	v_fma_f64 v[104:105], v[62:63], s[20:21], -v[102:103]
	v_fma_f64 v[78:79], v[62:63], s[20:21], v[102:103]
	v_mul_f64 v[102:103], v[56:57], s[26:27]
	v_add_f64 v[14:15], v[104:105], v[14:15]
	v_mul_f64 v[104:105], v[44:45], s[26:27]
	v_add_f64 v[18:19], v[78:79], v[18:19]
	v_fma_f64 v[106:107], v[42:43], s[0:1], v[104:105]
	v_fma_f64 v[78:79], v[42:43], s[0:1], -v[104:105]
	v_fma_f64 v[104:105], v[64:65], s[0:1], v[102:103]
	v_fma_f64 v[102:103], v[64:65], s[0:1], -v[102:103]
	v_add_f64 v[12:13], v[106:107], v[12:13]
	v_mul_f64 v[106:107], v[54:55], s[26:27]
	v_add_f64 v[16:17], v[78:79], v[16:17]
	v_fma_f64 v[123:124], v[48:49], s[0:1], -v[106:107]
	v_fma_f64 v[78:79], v[48:49], s[0:1], v[106:107]
	v_add_f64 v[14:15], v[123:124], v[14:15]
	v_mul_f64 v[123:124], v[40:41], s[46:47]
	v_add_f64 v[18:19], v[78:79], v[18:19]
	v_fma_f64 v[147:148], v[32:33], s[34:35], v[123:124]
	v_fma_f64 v[78:79], v[32:33], s[34:35], -v[123:124]
	v_add_f64 v[12:13], v[147:148], v[12:13]
	v_mul_f64 v[147:148], v[46:47], s[46:47]
	v_add_f64 v[16:17], v[78:79], v[16:17]
	v_fma_f64 v[149:150], v[38:39], s[34:35], -v[147:148]
	v_fma_f64 v[78:79], v[38:39], s[34:35], v[147:148]
	v_add_f64 v[14:15], v[149:150], v[14:15]
	v_mul_f64 v[149:150], v[34:35], s[12:13]
	v_add_f64 v[18:19], v[78:79], v[18:19]
	v_fma_f64 v[156:157], v[26:27], s[4:5], v[149:150]
	v_fma_f64 v[78:79], v[26:27], s[4:5], -v[149:150]
	v_add_f64 v[12:13], v[156:157], v[12:13]
	v_mul_f64 v[156:157], v[36:37], s[12:13]
	v_add_f64 v[16:17], v[78:79], v[16:17]
	v_fma_f64 v[78:79], v[28:29], s[4:5], v[156:157]
	v_fma_f64 v[158:159], v[28:29], s[4:5], -v[156:157]
	v_add_f64 v[78:79], v[78:79], v[18:19]
	v_fma_f64 v[18:19], v[20:21], s[28:29], -v[160:161]
	v_add_f64 v[158:159], v[158:159], v[14:15]
	v_fma_f64 v[14:15], v[20:21], s[28:29], v[160:161]
	v_mul_f64 v[160:161], v[24:25], s[18:19]
	v_add_f64 v[18:19], v[18:19], v[16:17]
	v_add_f64 v[16:17], v[80:81], v[78:79]
	v_fma_f64 v[78:79], v[70:71], s[28:29], v[88:89]
	v_fma_f64 v[80:81], v[72:73], s[28:29], -v[90:91]
	v_fma_f64 v[88:89], v[70:71], s[28:29], -v[88:89]
	v_fma_f64 v[90:91], v[72:73], s[28:29], v[90:91]
	v_add_f64 v[14:15], v[14:15], v[12:13]
	v_fma_f64 v[12:13], v[22:23], s[28:29], -v[162:163]
	v_mul_f64 v[162:163], v[30:31], s[18:19]
	v_add_f64 v[78:79], v[78:79], v[111:112]
	v_add_f64 v[80:81], v[125:126], v[80:81]
	;; [unrolled: 1-line block ×6, first 2 shown]
	v_mul_f64 v[104:105], v[68:69], s[26:27]
	v_add_f64 v[88:89], v[102:103], v[88:89]
	v_mul_f64 v[102:103], v[60:61], s[48:49]
	v_fma_f64 v[106:107], v[74:75], s[0:1], -v[104:105]
	v_fma_f64 v[104:105], v[74:75], s[0:1], v[104:105]
	v_fma_f64 v[137:138], v[70:71], s[24:25], -v[102:103]
	v_fma_f64 v[102:103], v[70:71], s[24:25], v[102:103]
	v_add_f64 v[80:81], v[106:107], v[80:81]
	v_mul_f64 v[106:107], v[50:51], s[38:39]
	v_add_f64 v[113:114], v[137:138], v[113:114]
	v_add_f64 v[90:91], v[104:105], v[90:91]
	;; [unrolled: 1-line block ×3, first 2 shown]
	v_fma_f64 v[111:112], v[52:53], s[24:25], v[106:107]
	v_fma_f64 v[106:107], v[52:53], s[24:25], -v[106:107]
	v_add_f64 v[78:79], v[111:112], v[78:79]
	v_mul_f64 v[111:112], v[66:67], s[38:39]
	v_add_f64 v[88:89], v[106:107], v[88:89]
	v_mul_f64 v[106:107], v[58:59], s[48:49]
	v_fma_f64 v[123:124], v[62:63], s[24:25], -v[111:112]
	v_fma_f64 v[111:112], v[62:63], s[24:25], v[111:112]
	v_fma_f64 v[137:138], v[72:73], s[24:25], -v[106:107]
	v_fma_f64 v[106:107], v[72:73], s[24:25], v[106:107]
	v_add_f64 v[80:81], v[123:124], v[80:81]
	v_mul_f64 v[123:124], v[44:45], s[52:53]
	v_add_f64 v[92:93], v[92:93], v[137:138]
	v_mul_f64 v[137:138], v[56:57], s[12:13]
	v_add_f64 v[90:91], v[111:112], v[90:91]
	v_add_f64 v[94:95], v[94:95], v[106:107]
	v_mul_f64 v[106:107], v[40:41], s[52:53]
	v_fma_f64 v[125:126], v[42:43], s[16:17], v[123:124]
	v_fma_f64 v[104:105], v[42:43], s[16:17], -v[123:124]
	v_fma_f64 v[139:140], v[64:65], s[4:5], -v[137:138]
	v_add_f64 v[78:79], v[125:126], v[78:79]
	v_mul_f64 v[125:126], v[54:55], s[52:53]
	v_add_f64 v[88:89], v[104:105], v[88:89]
	v_fma_f64 v[104:105], v[64:65], s[4:5], v[137:138]
	v_add_f64 v[113:114], v[139:140], v[113:114]
	v_fma_f64 v[135:136], v[48:49], s[16:17], -v[125:126]
	v_fma_f64 v[125:126], v[48:49], s[16:17], v[125:126]
	v_add_f64 v[102:103], v[104:105], v[102:103]
	v_mul_f64 v[104:105], v[68:69], s[12:13]
	v_add_f64 v[80:81], v[135:136], v[80:81]
	v_mul_f64 v[135:136], v[40:41], s[30:31]
	v_add_f64 v[90:91], v[125:126], v[90:91]
	v_fma_f64 v[123:124], v[74:75], s[4:5], -v[104:105]
	v_fma_f64 v[104:105], v[74:75], s[4:5], v[104:105]
	v_fma_f64 v[111:112], v[32:33], s[4:5], -v[135:136]
	v_fma_f64 v[147:148], v[32:33], s[4:5], v[135:136]
	v_add_f64 v[92:93], v[123:124], v[92:93]
	v_mul_f64 v[123:124], v[50:51], s[40:41]
	v_add_f64 v[94:95], v[104:105], v[94:95]
	v_mul_f64 v[104:105], v[34:35], s[26:27]
	v_add_f64 v[88:89], v[111:112], v[88:89]
	v_add_f64 v[78:79], v[147:148], v[78:79]
	v_mul_f64 v[147:148], v[46:47], s[30:31]
	v_fma_f64 v[111:112], v[52:53], s[14:15], v[123:124]
	v_fma_f64 v[137:138], v[52:53], s[14:15], -v[123:124]
	v_fma_f64 v[149:150], v[38:39], s[4:5], -v[147:148]
	v_add_f64 v[102:103], v[111:112], v[102:103]
	v_mul_f64 v[111:112], v[66:67], s[40:41]
	v_add_f64 v[113:114], v[137:138], v[113:114]
	v_add_f64 v[80:81], v[149:150], v[80:81]
	v_mul_f64 v[149:150], v[34:35], s[46:47]
	v_fma_f64 v[123:124], v[62:63], s[14:15], -v[111:112]
	v_fma_f64 v[111:112], v[62:63], s[14:15], v[111:112]
	v_fma_f64 v[125:126], v[26:27], s[34:35], -v[149:150]
	v_add_f64 v[92:93], v[123:124], v[92:93]
	v_mul_f64 v[123:124], v[44:45], s[46:47]
	v_fma_f64 v[156:157], v[26:27], s[34:35], v[149:150]
	v_add_f64 v[94:95], v[111:112], v[94:95]
	v_mul_f64 v[111:112], v[36:37], s[26:27]
	v_add_f64 v[88:89], v[125:126], v[88:89]
	v_fma_f64 v[135:136], v[42:43], s[34:35], -v[123:124]
	v_fma_f64 v[123:124], v[42:43], s[34:35], v[123:124]
	v_add_f64 v[78:79], v[156:157], v[78:79]
	v_mul_f64 v[156:157], v[36:37], s[46:47]
	v_add_f64 v[113:114], v[135:136], v[113:114]
	v_add_f64 v[102:103], v[123:124], v[102:103]
	v_mul_f64 v[123:124], v[54:55], s[46:47]
	v_fma_f64 v[158:159], v[28:29], s[34:35], -v[156:157]
	v_fma_f64 v[125:126], v[48:49], s[34:35], -v[123:124]
	v_fma_f64 v[123:124], v[48:49], s[34:35], v[123:124]
	v_add_f64 v[158:159], v[158:159], v[80:81]
	v_fma_f64 v[80:81], v[20:21], s[14:15], v[160:161]
	v_add_f64 v[92:93], v[125:126], v[92:93]
	v_fma_f64 v[125:126], v[32:33], s[16:17], -v[106:107]
	v_fma_f64 v[106:107], v[32:33], s[16:17], v[106:107]
	v_add_f64 v[94:95], v[123:124], v[94:95]
	v_add_f64 v[80:81], v[80:81], v[78:79]
	v_fma_f64 v[78:79], v[22:23], s[14:15], -v[162:163]
	v_add_f64 v[113:114], v[125:126], v[113:114]
	v_fma_f64 v[125:126], v[38:39], s[4:5], v[147:148]
	v_add_f64 v[102:103], v[106:107], v[102:103]
	v_mul_f64 v[106:107], v[46:47], s[52:53]
	v_add_f64 v[78:79], v[78:79], v[158:159]
	v_add_f64 v[90:91], v[125:126], v[90:91]
	v_fma_f64 v[125:126], v[38:39], s[16:17], -v[106:107]
	v_fma_f64 v[106:107], v[38:39], s[16:17], v[106:107]
	v_add_f64 v[92:93], v[125:126], v[92:93]
	v_fma_f64 v[125:126], v[26:27], s[0:1], -v[104:105]
	v_fma_f64 v[104:105], v[26:27], s[0:1], v[104:105]
	v_add_f64 v[94:95], v[106:107], v[94:95]
	v_mul_f64 v[106:107], v[58:59], s[36:37]
	v_add_f64 v[113:114], v[125:126], v[113:114]
	v_fma_f64 v[125:126], v[28:29], s[34:35], v[156:157]
	v_add_f64 v[102:103], v[104:105], v[102:103]
	v_mul_f64 v[104:105], v[58:59], s[46:47]
	v_add_f64 v[90:91], v[125:126], v[90:91]
	v_mul_f64 v[125:126], v[60:61], s[46:47]
	v_fma_f64 v[135:136], v[70:71], s[34:35], v[125:126]
	v_fma_f64 v[125:126], v[70:71], s[34:35], -v[125:126]
	v_add_f64 v[115:116], v[135:136], v[115:116]
	v_fma_f64 v[135:136], v[72:73], s[34:35], -v[104:105]
	v_add_f64 v[117:118], v[125:126], v[117:118]
	v_mul_f64 v[125:126], v[56:57], s[42:43]
	v_fma_f64 v[104:105], v[72:73], s[34:35], v[104:105]
	v_add_f64 v[127:128], v[127:128], v[135:136]
	v_fma_f64 v[135:136], v[28:29], s[0:1], -v[111:112]
	v_fma_f64 v[123:124], v[64:65], s[28:29], -v[125:126]
	v_add_f64 v[96:97], v[96:97], v[104:105]
	v_mul_f64 v[104:105], v[60:61], s[36:37]
	v_fma_f64 v[111:112], v[28:29], s[0:1], v[111:112]
	v_add_f64 v[92:93], v[135:136], v[92:93]
	v_fma_f64 v[135:136], v[64:65], s[28:29], v[125:126]
	v_add_f64 v[117:118], v[123:124], v[117:118]
	v_mul_f64 v[123:124], v[50:51], s[6:7]
	v_add_f64 v[94:95], v[111:112], v[94:95]
	v_mul_f64 v[111:112], v[34:35], s[50:51]
	;; [unrolled: 2-line block ×3, first 2 shown]
	v_fma_f64 v[125:126], v[52:53], s[0:1], v[123:124]
	v_fma_f64 v[123:124], v[52:53], s[0:1], -v[123:124]
	v_fma_f64 v[137:138], v[74:75], s[28:29], -v[135:136]
	v_add_f64 v[115:116], v[125:126], v[115:116]
	v_fma_f64 v[125:126], v[70:71], s[20:21], v[104:105]
	v_fma_f64 v[104:105], v[70:71], s[20:21], -v[104:105]
	v_add_f64 v[117:118], v[123:124], v[117:118]
	v_mul_f64 v[123:124], v[44:45], s[40:41]
	v_add_f64 v[127:128], v[137:138], v[127:128]
	v_add_f64 v[119:120], v[125:126], v[119:120]
	v_mul_f64 v[125:126], v[66:67], s[6:7]
	v_add_f64 v[84:85], v[104:105], v[84:85]
	v_fma_f64 v[104:105], v[74:75], s[28:29], v[135:136]
	v_fma_f64 v[137:138], v[62:63], s[0:1], -v[125:126]
	v_add_f64 v[96:97], v[104:105], v[96:97]
	v_mul_f64 v[104:105], v[56:57], s[54:55]
	v_add_f64 v[127:128], v[137:138], v[127:128]
	v_fma_f64 v[137:138], v[72:73], s[20:21], -v[106:107]
	v_fma_f64 v[106:107], v[72:73], s[20:21], v[106:107]
	v_fma_f64 v[135:136], v[64:65], s[34:35], v[104:105]
	v_fma_f64 v[104:105], v[64:65], s[34:35], -v[104:105]
	v_add_f64 v[129:130], v[129:130], v[137:138]
	v_fma_f64 v[137:138], v[42:43], s[14:15], v[123:124]
	v_add_f64 v[119:120], v[135:136], v[119:120]
	v_mul_f64 v[135:136], v[54:55], s[40:41]
	v_add_f64 v[84:85], v[104:105], v[84:85]
	v_fma_f64 v[104:105], v[62:63], s[0:1], v[125:126]
	v_fma_f64 v[123:124], v[42:43], s[14:15], -v[123:124]
	v_add_f64 v[98:99], v[98:99], v[106:107]
	v_mul_f64 v[106:107], v[66:67], s[42:43]
	v_add_f64 v[115:116], v[137:138], v[115:116]
	v_fma_f64 v[137:138], v[48:49], s[14:15], -v[135:136]
	v_add_f64 v[96:97], v[104:105], v[96:97]
	v_mul_f64 v[104:105], v[50:51], s[42:43]
	v_add_f64 v[117:118], v[123:124], v[117:118]
	v_mul_f64 v[123:124], v[40:41], s[38:39]
	;; [unrolled: 2-line block ×3, first 2 shown]
	v_fma_f64 v[125:126], v[52:53], s[28:29], v[104:105]
	v_fma_f64 v[104:105], v[52:53], s[28:29], -v[104:105]
	v_fma_f64 v[139:140], v[74:75], s[34:35], -v[137:138]
	v_add_f64 v[119:120], v[125:126], v[119:120]
	v_add_f64 v[84:85], v[104:105], v[84:85]
	v_fma_f64 v[104:105], v[48:49], s[14:15], v[135:136]
	v_mul_f64 v[125:126], v[46:47], s[38:39]
	v_add_f64 v[129:130], v[139:140], v[129:130]
	v_fma_f64 v[139:140], v[32:33], s[24:25], v[123:124]
	v_fma_f64 v[123:124], v[32:33], s[24:25], -v[123:124]
	v_add_f64 v[96:97], v[104:105], v[96:97]
	v_mul_f64 v[104:105], v[44:45], s[12:13]
	v_add_f64 v[115:116], v[139:140], v[115:116]
	v_add_f64 v[117:118], v[123:124], v[117:118]
	v_fma_f64 v[123:124], v[26:27], s[20:21], v[111:112]
	v_fma_f64 v[139:140], v[38:39], s[24:25], -v[125:126]
	v_fma_f64 v[111:112], v[26:27], s[20:21], -v[111:112]
	v_add_f64 v[115:116], v[123:124], v[115:116]
	v_fma_f64 v[123:124], v[42:43], s[4:5], v[104:105]
	v_fma_f64 v[104:105], v[42:43], s[4:5], -v[104:105]
	v_add_f64 v[127:128], v[139:140], v[127:128]
	v_fma_f64 v[139:140], v[62:63], s[28:29], -v[106:107]
	v_add_f64 v[111:112], v[111:112], v[117:118]
	v_fma_f64 v[106:107], v[62:63], s[28:29], v[106:107]
	v_add_f64 v[119:120], v[123:124], v[119:120]
	v_mul_f64 v[123:124], v[36:37], s[50:51]
	v_add_f64 v[84:85], v[104:105], v[84:85]
	v_fma_f64 v[104:105], v[38:39], s[24:25], v[125:126]
	v_add_f64 v[129:130], v[139:140], v[129:130]
	v_fma_f64 v[135:136], v[28:29], s[20:21], -v[123:124]
	v_add_f64 v[96:97], v[104:105], v[96:97]
	v_mul_f64 v[104:105], v[40:41], s[26:27]
	v_add_f64 v[127:128], v[135:136], v[127:128]
	v_fma_f64 v[135:136], v[74:75], s[34:35], v[137:138]
	v_fma_f64 v[117:118], v[32:33], s[0:1], v[104:105]
	v_fma_f64 v[104:105], v[32:33], s[0:1], -v[104:105]
	v_add_f64 v[98:99], v[135:136], v[98:99]
	v_mul_f64 v[135:136], v[54:55], s[12:13]
	v_add_f64 v[117:118], v[117:118], v[119:120]
	v_add_f64 v[84:85], v[104:105], v[84:85]
	;; [unrolled: 1-line block ×3, first 2 shown]
	v_fma_f64 v[104:105], v[48:49], s[4:5], v[135:136]
	v_fma_f64 v[137:138], v[48:49], s[4:5], -v[135:136]
	v_mul_f64 v[106:107], v[46:47], s[26:27]
	v_add_f64 v[98:99], v[104:105], v[98:99]
	v_mul_f64 v[104:105], v[60:61], s[22:23]
	v_mul_f64 v[60:61], v[60:61], s[30:31]
	v_add_f64 v[129:130], v[137:138], v[129:130]
	v_fma_f64 v[119:120], v[38:39], s[0:1], -v[106:107]
	v_fma_f64 v[125:126], v[70:71], s[16:17], -v[104:105]
	v_fma_f64 v[104:105], v[70:71], s[16:17], v[104:105]
	v_add_f64 v[119:120], v[119:120], v[129:130]
	v_add_f64 v[121:122], v[125:126], v[121:122]
	v_fma_f64 v[125:126], v[70:71], s[4:5], -v[60:61]
	v_fma_f64 v[60:61], v[70:71], s[4:5], v[60:61]
	v_mul_f64 v[70:71], v[58:59], s[22:23]
	v_add_f64 v[86:87], v[104:105], v[86:87]
	v_mul_f64 v[58:59], v[58:59], s[30:31]
	v_add_f64 v[60:61], v[60:61], v[143:144]
	v_fma_f64 v[129:130], v[72:73], s[16:17], v[70:71]
	v_fma_f64 v[70:71], v[72:73], s[16:17], -v[70:71]
	v_fma_f64 v[135:136], v[72:73], s[4:5], v[58:59]
	v_fma_f64 v[58:59], v[72:73], s[4:5], -v[58:59]
	v_add_f64 v[72:73], v[125:126], v[82:83]
	v_add_f64 v[125:126], v[131:132], v[129:130]
	;; [unrolled: 1-line block ×3, first 2 shown]
	v_mul_f64 v[100:101], v[56:57], s[36:37]
	v_mul_f64 v[56:57], v[56:57], s[40:41]
	v_add_f64 v[82:83], v[133:134], v[135:136]
	v_add_f64 v[58:59], v[145:146], v[58:59]
	v_fma_f64 v[104:105], v[64:65], s[20:21], -v[100:101]
	v_fma_f64 v[100:101], v[64:65], s[20:21], v[100:101]
	v_add_f64 v[104:105], v[104:105], v[121:122]
	v_fma_f64 v[121:122], v[64:65], s[14:15], -v[56:57]
	v_fma_f64 v[56:57], v[64:65], s[14:15], v[56:57]
	v_mul_f64 v[64:65], v[68:69], s[36:37]
	v_mul_f64 v[68:69], v[68:69], s[40:41]
	v_add_f64 v[86:87], v[100:101], v[86:87]
	v_add_f64 v[72:73], v[121:122], v[72:73]
	v_fma_f64 v[129:130], v[74:75], s[20:21], v[64:65]
	v_fma_f64 v[64:65], v[74:75], s[20:21], -v[64:65]
	v_fma_f64 v[131:132], v[74:75], s[14:15], v[68:69]
	v_fma_f64 v[68:69], v[74:75], s[14:15], -v[68:69]
	v_add_f64 v[64:65], v[64:65], v[70:71]
	v_mul_f64 v[70:71], v[50:51], s[46:47]
	v_mul_f64 v[50:51], v[50:51], s[22:23]
	v_add_f64 v[74:75], v[131:132], v[82:83]
	v_add_f64 v[82:83], v[129:130], v[125:126]
	;; [unrolled: 1-line block ×3, first 2 shown]
	v_mul_f64 v[68:69], v[44:45], s[48:49]
	v_mul_f64 v[44:45], v[44:45], s[44:45]
	v_fma_f64 v[100:101], v[52:53], s[34:35], -v[70:71]
	v_fma_f64 v[70:71], v[52:53], s[34:35], v[70:71]
	v_add_f64 v[100:101], v[100:101], v[104:105]
	v_fma_f64 v[104:105], v[52:53], s[16:17], -v[50:51]
	v_fma_f64 v[50:51], v[52:53], s[16:17], v[50:51]
	v_add_f64 v[52:53], v[56:57], v[60:61]
	v_mul_f64 v[56:57], v[66:67], s[46:47]
	v_mul_f64 v[60:61], v[66:67], s[22:23]
	v_add_f64 v[70:71], v[70:71], v[86:87]
	v_mul_f64 v[86:87], v[40:41], s[42:43]
	v_mul_f64 v[40:41], v[40:41], s[36:37]
	v_fma_f64 v[66:67], v[62:63], s[34:35], v[56:57]
	v_fma_f64 v[121:122], v[62:63], s[16:17], v[60:61]
	v_fma_f64 v[56:57], v[62:63], s[34:35], -v[56:57]
	v_fma_f64 v[60:61], v[62:63], s[16:17], -v[60:61]
	v_add_f64 v[62:63], v[104:105], v[72:73]
	v_add_f64 v[66:67], v[66:67], v[82:83]
	;; [unrolled: 1-line block ×3, first 2 shown]
	v_fma_f64 v[74:75], v[42:43], s[24:25], -v[68:69]
	v_mul_f64 v[82:83], v[54:55], s[44:45]
	v_mul_f64 v[54:55], v[54:55], s[48:49]
	v_add_f64 v[56:57], v[56:57], v[64:65]
	v_fma_f64 v[64:65], v[42:43], s[28:29], -v[44:45]
	v_fma_f64 v[68:69], v[42:43], s[24:25], v[68:69]
	v_fma_f64 v[42:43], v[42:43], s[28:29], v[44:45]
	v_add_f64 v[44:45], v[50:51], v[52:53]
	v_add_f64 v[58:59], v[60:61], v[58:59]
	v_mul_f64 v[60:61], v[34:35], s[22:23]
	v_mul_f64 v[121:122], v[30:31], s[6:7]
	v_add_f64 v[74:75], v[74:75], v[100:101]
	v_fma_f64 v[50:51], v[48:49], s[28:29], v[82:83]
	v_fma_f64 v[52:53], v[48:49], s[24:25], v[54:55]
	v_fma_f64 v[54:55], v[48:49], s[24:25], -v[54:55]
	v_mul_f64 v[100:101], v[46:47], s[36:37]
	v_fma_f64 v[48:49], v[48:49], s[28:29], -v[82:83]
	v_fma_f64 v[82:83], v[32:33], s[28:29], -v[86:87]
	v_mul_f64 v[46:47], v[46:47], s[42:43]
	v_add_f64 v[62:63], v[64:65], v[62:63]
	v_mul_f64 v[64:65], v[34:35], s[18:19]
	v_mul_f64 v[34:35], v[34:35], s[38:39]
	v_add_f64 v[50:51], v[50:51], v[72:73]
	v_add_f64 v[52:53], v[52:53], v[66:67]
	;; [unrolled: 1-line block ×3, first 2 shown]
	v_fma_f64 v[68:69], v[32:33], s[20:21], -v[40:41]
	v_fma_f64 v[70:71], v[38:39], s[20:21], v[100:101]
	v_add_f64 v[72:73], v[82:83], v[74:75]
	v_fma_f64 v[74:75], v[32:33], s[28:29], v[86:87]
	v_fma_f64 v[82:83], v[38:39], s[0:1], v[106:107]
	v_fma_f64 v[86:87], v[26:27], s[16:17], -v[60:61]
	v_fma_f64 v[32:33], v[32:33], s[20:21], v[40:41]
	v_add_f64 v[40:41], v[42:43], v[44:45]
	v_add_f64 v[54:55], v[54:55], v[56:57]
	v_fma_f64 v[56:57], v[38:39], s[28:29], v[46:47]
	v_mul_f64 v[42:43], v[36:37], s[38:39]
	v_fma_f64 v[44:45], v[38:39], s[28:29], -v[46:47]
	v_mul_f64 v[46:47], v[36:37], s[18:19]
	v_fma_f64 v[104:105], v[26:27], s[14:15], -v[64:65]
	v_mul_f64 v[36:37], v[36:37], s[22:23]
	v_add_f64 v[48:49], v[48:49], v[58:59]
	v_fma_f64 v[64:65], v[26:27], s[14:15], v[64:65]
	v_fma_f64 v[38:39], v[38:39], s[20:21], -v[100:101]
	v_fma_f64 v[100:101], v[28:29], s[20:21], v[123:124]
	v_fma_f64 v[60:61], v[26:27], s[16:17], v[60:61]
	v_mul_f64 v[106:107], v[30:31], s[46:47]
	v_mul_f64 v[123:124], v[30:31], s[38:39]
	v_add_f64 v[58:59], v[68:69], v[62:63]
	v_add_f64 v[50:51], v[70:71], v[50:51]
	v_fma_f64 v[62:63], v[20:21], s[14:15], -v[160:161]
	v_add_f64 v[66:67], v[74:75], v[66:67]
	v_add_f64 v[70:71], v[82:83], v[98:99]
	v_fma_f64 v[82:83], v[26:27], s[24:25], -v[34:35]
	v_add_f64 v[84:85], v[86:87], v[84:85]
	v_mul_f64 v[86:87], v[30:31], s[36:37]
	v_add_f64 v[32:33], v[32:33], v[40:41]
	v_mul_f64 v[40:41], v[24:25], s[6:7]
	v_fma_f64 v[74:75], v[28:29], s[24:25], v[42:43]
	v_add_f64 v[44:45], v[44:45], v[54:55]
	v_fma_f64 v[54:55], v[28:29], s[14:15], v[46:47]
	v_fma_f64 v[46:47], v[28:29], s[14:15], -v[46:47]
	v_fma_f64 v[98:99], v[28:29], s[16:17], v[36:37]
	v_fma_f64 v[36:37], v[28:29], s[16:17], -v[36:37]
	v_fma_f64 v[28:29], v[28:29], s[24:25], -v[42:43]
	v_add_f64 v[52:53], v[56:57], v[52:53]
	v_mul_f64 v[56:57], v[24:25], s[36:37]
	v_add_f64 v[72:73], v[104:105], v[72:73]
	v_fma_f64 v[26:27], v[26:27], s[24:25], v[34:35]
	v_mul_f64 v[34:35], v[24:25], s[12:13]
	v_mul_f64 v[104:105], v[24:25], s[38:39]
	;; [unrolled: 1-line block ×4, first 2 shown]
	v_add_f64 v[64:65], v[64:65], v[66:67]
	v_add_f64 v[38:39], v[38:39], v[48:49]
	;; [unrolled: 1-line block ×4, first 2 shown]
	v_fma_f64 v[58:59], v[22:23], s[20:21], -v[86:87]
	v_fma_f64 v[117:118], v[22:23], s[24:25], v[123:124]
	v_fma_f64 v[133:134], v[20:21], s[0:1], v[40:41]
	v_add_f64 v[50:51], v[74:75], v[50:51]
	v_fma_f64 v[66:67], v[20:21], s[0:1], -v[40:41]
	v_fma_f64 v[86:87], v[22:23], s[20:21], v[86:87]
	v_add_f64 v[131:132], v[46:47], v[44:45]
	v_fma_f64 v[68:69], v[22:23], s[14:15], v[162:163]
	v_add_f64 v[82:83], v[36:37], v[119:120]
	v_fma_f64 v[123:124], v[22:23], s[24:25], -v[123:124]
	v_add_f64 v[52:53], v[54:55], v[52:53]
	v_add_f64 v[54:55], v[98:99], v[70:71]
	;; [unrolled: 1-line block ×3, first 2 shown]
	v_fma_f64 v[98:99], v[22:23], s[34:35], v[106:107]
	v_fma_f64 v[100:101], v[22:23], s[0:1], v[121:122]
	v_fma_f64 v[36:37], v[20:21], s[24:25], -v[104:105]
	v_fma_f64 v[96:97], v[20:21], s[34:35], -v[24:25]
	;; [unrolled: 1-line block ×3, first 2 shown]
	v_fma_f64 v[119:120], v[22:23], s[4:5], v[30:31]
	v_fma_f64 v[48:49], v[20:21], s[20:21], -v[56:57]
	v_fma_f64 v[56:57], v[20:21], s[20:21], v[56:57]
	v_fma_f64 v[125:126], v[20:21], s[4:5], v[34:35]
	v_add_f64 v[44:45], v[58:59], v[92:93]
	v_fma_f64 v[129:130], v[22:23], s[4:5], -v[30:31]
	v_add_f64 v[58:59], v[133:134], v[64:65]
	s_clause 0x1
	buffer_load_dword v64, off, s[60:63], 0 offset:480
	buffer_load_dword v65, off, s[60:63], 0 offset:496
	v_fma_f64 v[104:105], v[20:21], s[24:25], v[104:105]
	v_fma_f64 v[121:122], v[22:23], s[0:1], -v[121:122]
	v_fma_f64 v[135:136], v[20:21], s[34:35], v[24:25]
	v_add_f64 v[137:138], v[26:27], v[32:33]
	v_fma_f64 v[106:107], v[22:23], s[34:35], -v[106:107]
	v_add_f64 v[139:140], v[28:29], v[38:39]
	v_add_f64 v[38:39], v[66:67], v[72:73]
	;; [unrolled: 1-line block ×21, first 2 shown]
	s_waitcnt vmcnt(0)
	v_lshl_add_u32 v64, v65, 4, v64
	ds_write_b128 v64, v[4:7]
	ds_write_b128 v64, v[40:43] offset:16
	ds_write_b128 v64, v[36:39] offset:32
	;; [unrolled: 1-line block ×16, first 2 shown]
.LBB0_13:
	s_or_b32 exec_lo, exec_lo, s33
	s_waitcnt lgkmcnt(0)
	s_barrier
	buffer_gl0_inv
	ds_read_b128 v[0:3], v108 offset:2176
	ds_read_b128 v[4:7], v108 offset:2448
	s_mov_b32 s0, 0xe8584caa
	s_mov_b32 s1, 0xbfebb67a
	;; [unrolled: 1-line block ×4, first 2 shown]
	s_mul_i32 s6, s8, 0x300
	s_waitcnt lgkmcnt(1)
	v_mul_f64 v[8:9], v[170:171], v[2:3]
	v_fma_f64 v[30:31], v[168:169], v[0:1], v[8:9]
	v_mul_f64 v[0:1], v[170:171], v[0:1]
	v_fma_f64 v[32:33], v[168:169], v[2:3], -v[0:1]
	s_waitcnt lgkmcnt(0)
	v_mul_f64 v[0:1], v[170:171], v[6:7]
	v_fma_f64 v[38:39], v[168:169], v[4:5], v[0:1]
	v_mul_f64 v[0:1], v[170:171], v[4:5]
	v_fma_f64 v[40:41], v[168:169], v[6:7], -v[0:1]
	ds_read_b128 v[0:3], v108 offset:4352
	ds_read_b128 v[4:7], v108 offset:4624
	s_waitcnt lgkmcnt(1)
	v_mul_f64 v[8:9], v[154:155], v[2:3]
	v_fma_f64 v[34:35], v[152:153], v[0:1], v[8:9]
	v_mul_f64 v[0:1], v[154:155], v[0:1]
	v_fma_f64 v[36:37], v[152:153], v[2:3], -v[0:1]
	s_waitcnt lgkmcnt(0)
	v_mul_f64 v[0:1], v[154:155], v[6:7]
	v_fma_f64 v[42:43], v[152:153], v[4:5], v[0:1]
	v_mul_f64 v[0:1], v[154:155], v[4:5]
	v_fma_f64 v[44:45], v[152:153], v[6:7], -v[0:1]
	ds_read_b128 v[0:3], v108 offset:2720
	ds_read_b128 v[4:7], v108 offset:2992
	s_clause 0x3
	buffer_load_dword v10, off, s[60:63], 0 offset:708
	buffer_load_dword v11, off, s[60:63], 0 offset:712
	;; [unrolled: 1-line block ×4, first 2 shown]
	s_waitcnt vmcnt(0) lgkmcnt(1)
	v_mul_f64 v[8:9], v[12:13], v[2:3]
	v_fma_f64 v[54:55], v[10:11], v[0:1], v[8:9]
	v_mul_f64 v[0:1], v[12:13], v[0:1]
	v_fma_f64 v[56:57], v[10:11], v[2:3], -v[0:1]
	ds_read_b128 v[0:3], v108 offset:4896
	ds_read_b128 v[12:15], v108 offset:5168
	s_clause 0x3
	buffer_load_dword v16, off, s[60:63], 0 offset:660
	buffer_load_dword v17, off, s[60:63], 0 offset:664
	;; [unrolled: 1-line block ×4, first 2 shown]
	s_waitcnt vmcnt(0) lgkmcnt(1)
	v_mul_f64 v[8:9], v[18:19], v[2:3]
	v_fma_f64 v[58:59], v[16:17], v[0:1], v[8:9]
	v_mul_f64 v[0:1], v[18:19], v[0:1]
	v_add_f64 v[62:63], v[54:55], v[58:59]
	v_fma_f64 v[60:61], v[16:17], v[2:3], -v[0:1]
	s_clause 0x3
	buffer_load_dword v16, off, s[60:63], 0 offset:692
	buffer_load_dword v17, off, s[60:63], 0 offset:696
	;; [unrolled: 1-line block ×4, first 2 shown]
	v_add_f64 v[64:65], v[56:57], v[60:61]
	s_waitcnt vmcnt(0)
	v_mul_f64 v[0:1], v[18:19], v[6:7]
	v_fma_f64 v[10:11], v[16:17], v[4:5], v[0:1]
	v_mul_f64 v[0:1], v[18:19], v[4:5]
	s_clause 0x3
	buffer_load_dword v2, off, s[60:63], 0 offset:676
	buffer_load_dword v3, off, s[60:63], 0 offset:680
	;; [unrolled: 1-line block ×4, first 2 shown]
	v_fma_f64 v[18:19], v[16:17], v[6:7], -v[0:1]
	s_waitcnt vmcnt(0) lgkmcnt(0)
	v_mul_f64 v[0:1], v[4:5], v[14:15]
	v_fma_f64 v[74:75], v[2:3], v[12:13], v[0:1]
	v_mul_f64 v[0:1], v[4:5], v[12:13]
	v_fma_f64 v[82:83], v[2:3], v[14:15], -v[0:1]
	ds_read_b128 v[0:3], v108 offset:3264
	ds_read_b128 v[6:9], v108 offset:3536
	s_clause 0x3
	buffer_load_dword v12, off, s[60:63], 0 offset:644
	buffer_load_dword v13, off, s[60:63], 0 offset:648
	;; [unrolled: 1-line block ×4, first 2 shown]
	s_waitcnt vmcnt(0) lgkmcnt(1)
	v_mul_f64 v[4:5], v[14:15], v[2:3]
	v_fma_f64 v[16:17], v[12:13], v[0:1], v[4:5]
	v_mul_f64 v[0:1], v[14:15], v[0:1]
	v_fma_f64 v[84:85], v[12:13], v[2:3], -v[0:1]
	ds_read_b128 v[0:3], v108 offset:5440
	ds_read_b128 v[20:23], v108 offset:5712
	s_clause 0x3
	buffer_load_dword v12, off, s[60:63], 0 offset:612
	buffer_load_dword v13, off, s[60:63], 0 offset:616
	;; [unrolled: 1-line block ×4, first 2 shown]
	s_waitcnt vmcnt(0) lgkmcnt(1)
	v_mul_f64 v[4:5], v[14:15], v[2:3]
	v_fma_f64 v[86:87], v[12:13], v[0:1], v[4:5]
	v_mul_f64 v[0:1], v[14:15], v[0:1]
	v_fma_f64 v[88:89], v[12:13], v[2:3], -v[0:1]
	s_clause 0x7
	buffer_load_dword v12, off, s[60:63], 0 offset:628
	buffer_load_dword v13, off, s[60:63], 0 offset:632
	;; [unrolled: 1-line block ×8, first 2 shown]
	s_waitcnt vmcnt(4)
	v_mul_f64 v[0:1], v[14:15], v[8:9]
	v_fma_f64 v[4:5], v[12:13], v[6:7], v[0:1]
	v_mul_f64 v[0:1], v[14:15], v[6:7]
	v_fma_f64 v[8:9], v[12:13], v[8:9], -v[0:1]
	s_waitcnt vmcnt(0) lgkmcnt(0)
	v_mul_f64 v[0:1], v[26:27], v[22:23]
	v_fma_f64 v[14:15], v[24:25], v[20:21], v[0:1]
	v_mul_f64 v[0:1], v[26:27], v[20:21]
	v_fma_f64 v[20:21], v[24:25], v[22:23], -v[0:1]
	ds_read_b128 v[0:3], v108 offset:3808
	ds_read_b128 v[22:25], v108 offset:4080
	s_clause 0x3
	buffer_load_dword v26, off, s[60:63], 0 offset:580
	buffer_load_dword v27, off, s[60:63], 0 offset:584
	;; [unrolled: 1-line block ×4, first 2 shown]
	s_waitcnt vmcnt(0) lgkmcnt(1)
	v_mul_f64 v[6:7], v[28:29], v[2:3]
	v_fma_f64 v[6:7], v[26:27], v[0:1], v[6:7]
	v_mul_f64 v[0:1], v[28:29], v[0:1]
	v_fma_f64 v[12:13], v[26:27], v[2:3], -v[0:1]
	ds_read_b128 v[0:3], v108 offset:5984
	ds_read_b128 v[26:29], v108 offset:6256
	s_clause 0x3
	buffer_load_dword v48, off, s[60:63], 0 offset:564
	buffer_load_dword v49, off, s[60:63], 0 offset:568
	;; [unrolled: 1-line block ×4, first 2 shown]
	s_waitcnt vmcnt(0) lgkmcnt(1)
	v_mul_f64 v[46:47], v[50:51], v[2:3]
	v_fma_f64 v[90:91], v[48:49], v[0:1], v[46:47]
	v_mul_f64 v[0:1], v[50:51], v[0:1]
	v_add_f64 v[46:47], v[30:31], v[34:35]
	v_fma_f64 v[92:93], v[48:49], v[2:3], -v[0:1]
	v_mul_f64 v[0:1], v[246:247], v[24:25]
	v_mul_f64 v[2:3], v[246:247], v[22:23]
	v_add_f64 v[48:49], v[32:33], v[36:37]
	v_fma_f64 v[0:1], v[244:245], v[22:23], v[0:1]
	s_waitcnt lgkmcnt(0)
	v_mul_f64 v[22:23], v[242:243], v[28:29]
	v_fma_f64 v[2:3], v[244:245], v[24:25], -v[2:3]
	v_fma_f64 v[94:95], v[240:241], v[26:27], v[22:23]
	v_mul_f64 v[22:23], v[242:243], v[26:27]
	v_fma_f64 v[96:97], v[240:241], v[28:29], -v[22:23]
	ds_read_b128 v[22:25], v108
	ds_read_b128 v[26:29], v108 offset:272
	s_waitcnt lgkmcnt(1)
	v_fma_f64 v[48:49], v[48:49], -0.5, v[24:25]
	v_add_f64 v[24:25], v[24:25], v[32:33]
	v_fma_f64 v[46:47], v[46:47], -0.5, v[22:23]
	v_add_f64 v[22:23], v[22:23], v[30:31]
	v_add_f64 v[32:33], v[32:33], -v[36:37]
	v_add_f64 v[24:25], v[24:25], v[36:37]
	v_add_f64 v[36:37], v[30:31], -v[34:35]
	v_add_f64 v[22:23], v[22:23], v[34:35]
	v_fma_f64 v[30:31], v[32:33], s[0:1], v[46:47]
	v_fma_f64 v[34:35], v[32:33], s[4:5], v[46:47]
	v_add_f64 v[46:47], v[38:39], v[42:43]
	v_fma_f64 v[32:33], v[36:37], s[4:5], v[48:49]
	v_fma_f64 v[36:37], v[36:37], s[0:1], v[48:49]
	v_add_f64 v[48:49], v[40:41], v[44:45]
	s_waitcnt lgkmcnt(0)
	v_fma_f64 v[46:47], v[46:47], -0.5, v[26:27]
	v_add_f64 v[26:27], v[26:27], v[38:39]
	v_fma_f64 v[48:49], v[48:49], -0.5, v[28:29]
	v_add_f64 v[28:29], v[28:29], v[40:41]
	v_add_f64 v[40:41], v[40:41], -v[44:45]
	v_add_f64 v[26:27], v[26:27], v[42:43]
	v_add_f64 v[28:29], v[28:29], v[44:45]
	v_add_f64 v[44:45], v[38:39], -v[42:43]
	v_fma_f64 v[38:39], v[40:41], s[0:1], v[46:47]
	v_fma_f64 v[42:43], v[40:41], s[4:5], v[46:47]
	;; [unrolled: 1-line block ×4, first 2 shown]
	ds_read_b128 v[46:49], v108 offset:544
	ds_read_b128 v[50:53], v108 offset:816
	s_waitcnt lgkmcnt(1)
	v_fma_f64 v[64:65], v[64:65], -0.5, v[48:49]
	v_add_f64 v[48:49], v[48:49], v[56:57]
	v_fma_f64 v[62:63], v[62:63], -0.5, v[46:47]
	v_add_f64 v[46:47], v[46:47], v[54:55]
	v_add_f64 v[56:57], v[56:57], -v[60:61]
	v_add_f64 v[48:49], v[48:49], v[60:61]
	v_add_f64 v[60:61], v[54:55], -v[58:59]
	v_add_f64 v[46:47], v[46:47], v[58:59]
	v_fma_f64 v[54:55], v[56:57], s[0:1], v[62:63]
	v_fma_f64 v[58:59], v[56:57], s[4:5], v[62:63]
	;; [unrolled: 1-line block ×4, first 2 shown]
	ds_read_b128 v[62:65], v108 offset:1088
	ds_read_b128 v[66:69], v108 offset:1360
	;; [unrolled: 1-line block ×4, first 2 shown]
	s_waitcnt lgkmcnt(0)
	s_barrier
	buffer_gl0_inv
	ds_write_b128 v108, v[22:25]
	ds_write_b128 v108, v[30:33] offset:272
	ds_write_b128 v108, v[34:37] offset:544
	;; [unrolled: 1-line block ×8, first 2 shown]
	v_add_f64 v[22:23], v[10:11], v[74:75]
	v_add_f64 v[26:27], v[50:51], v[10:11]
	v_add_f64 v[10:11], v[10:11], -v[74:75]
	v_fma_f64 v[28:29], v[22:23], -0.5, v[50:51]
	v_add_f64 v[22:23], v[18:19], v[82:83]
	v_fma_f64 v[32:33], v[22:23], -0.5, v[52:53]
	v_add_f64 v[22:23], v[52:53], v[18:19]
	v_add_f64 v[18:19], v[18:19], -v[82:83]
	v_add_f64 v[24:25], v[22:23], v[82:83]
	v_add_f64 v[22:23], v[26:27], v[74:75]
	v_fma_f64 v[26:27], v[18:19], s[0:1], v[28:29]
	v_fma_f64 v[30:31], v[18:19], s[4:5], v[28:29]
	;; [unrolled: 1-line block ×4, first 2 shown]
	buffer_load_dword v10, off, s[60:63], 0 offset:932 ; 4-byte Folded Reload
	v_add_f64 v[18:19], v[84:85], v[88:89]
	s_waitcnt vmcnt(0)
	ds_write_b128 v10, v[22:25] offset:2448
	ds_write_b128 v10, v[26:29] offset:2720
	;; [unrolled: 1-line block ×3, first 2 shown]
	v_add_f64 v[10:11], v[16:17], v[86:87]
	v_add_f64 v[26:27], v[84:85], -v[88:89]
	v_add_f64 v[22:23], v[62:63], v[16:17]
	v_add_f64 v[30:31], v[16:17], -v[86:87]
	v_fma_f64 v[28:29], v[18:19], -0.5, v[64:65]
	v_add_f64 v[18:19], v[64:65], v[84:85]
	v_fma_f64 v[10:11], v[10:11], -0.5, v[62:63]
	v_add_f64 v[22:23], v[22:23], v[86:87]
	v_add_f64 v[24:25], v[18:19], v[88:89]
	v_fma_f64 v[18:19], v[30:31], s[4:5], v[28:29]
	v_fma_f64 v[28:29], v[30:31], s[0:1], v[28:29]
	v_fma_f64 v[16:17], v[26:27], s[0:1], v[10:11]
	v_fma_f64 v[26:27], v[26:27], s[4:5], v[10:11]
	buffer_load_dword v10, off, s[60:63], 0 offset:924 ; 4-byte Folded Reload
	s_waitcnt vmcnt(0)
	ds_write_b128 v10, v[22:25] offset:3264
	ds_write_b128 v10, v[16:19] offset:3536
	ds_write_b128 v10, v[26:29] offset:3808
	v_add_f64 v[10:11], v[4:5], v[14:15]
	v_add_f64 v[18:19], v[66:67], v[4:5]
	v_add_f64 v[24:25], v[8:9], -v[20:21]
	v_add_f64 v[4:5], v[4:5], -v[14:15]
	v_fma_f64 v[16:17], v[10:11], -0.5, v[66:67]
	v_add_f64 v[10:11], v[8:9], v[20:21]
	v_fma_f64 v[22:23], v[10:11], -0.5, v[68:69]
	v_add_f64 v[10:11], v[68:69], v[8:9]
	v_add_f64 v[8:9], v[18:19], v[14:15]
	v_fma_f64 v[14:15], v[24:25], s[0:1], v[16:17]
	v_fma_f64 v[18:19], v[24:25], s[4:5], v[16:17]
	;; [unrolled: 1-line block ×3, first 2 shown]
	v_add_f64 v[10:11], v[10:11], v[20:21]
	v_fma_f64 v[20:21], v[4:5], s[0:1], v[22:23]
	buffer_load_dword v4, off, s[60:63], 0 offset:916 ; 4-byte Folded Reload
	s_waitcnt vmcnt(0)
	ds_write_b128 v4, v[8:11] offset:4080
	ds_write_b128 v4, v[14:17] offset:4352
	;; [unrolled: 1-line block ×3, first 2 shown]
	v_add_f64 v[4:5], v[6:7], v[90:91]
	v_add_f64 v[18:19], v[6:7], -v[90:91]
	v_add_f64 v[8:9], v[70:71], v[6:7]
	v_fma_f64 v[14:15], v[4:5], -0.5, v[70:71]
	v_add_f64 v[4:5], v[12:13], v[92:93]
	v_add_f64 v[8:9], v[8:9], v[90:91]
	v_fma_f64 v[16:17], v[4:5], -0.5, v[72:73]
	v_add_f64 v[4:5], v[72:73], v[12:13]
	v_add_f64 v[12:13], v[12:13], -v[92:93]
	v_fma_f64 v[6:7], v[18:19], s[4:5], v[16:17]
	v_add_f64 v[10:11], v[4:5], v[92:93]
	v_fma_f64 v[4:5], v[12:13], s[0:1], v[14:15]
	v_fma_f64 v[12:13], v[12:13], s[4:5], v[14:15]
	;; [unrolled: 1-line block ×3, first 2 shown]
	buffer_load_dword v16, off, s[60:63], 0 offset:908 ; 4-byte Folded Reload
	s_waitcnt vmcnt(0)
	ds_write_b128 v16, v[8:11] offset:4896
	ds_write_b128 v16, v[4:7] offset:5168
	;; [unrolled: 1-line block ×3, first 2 shown]
	v_add_f64 v[4:5], v[0:1], v[94:95]
	v_add_f64 v[6:7], v[78:79], v[0:1]
	v_add_f64 v[10:11], v[2:3], -v[96:97]
	v_add_f64 v[0:1], v[0:1], -v[94:95]
	v_fma_f64 v[8:9], v[4:5], -0.5, v[78:79]
	v_add_f64 v[4:5], v[2:3], v[96:97]
	v_fma_f64 v[12:13], v[4:5], -0.5, v[80:81]
	v_add_f64 v[4:5], v[80:81], v[2:3]
	v_add_f64 v[2:3], v[6:7], v[94:95]
	v_fma_f64 v[6:7], v[10:11], s[0:1], v[8:9]
	v_fma_f64 v[10:11], v[10:11], s[4:5], v[8:9]
	;; [unrolled: 1-line block ×4, first 2 shown]
	buffer_load_dword v0, off, s[60:63], 0 offset:900 ; 4-byte Folded Reload
	v_add_f64 v[4:5], v[4:5], v[96:97]
	s_mov_b32 s0, 0x667f3bcd
	s_mov_b32 s1, 0xbfe6a09e
	;; [unrolled: 1-line block ×4, first 2 shown]
	s_waitcnt vmcnt(0)
	ds_write_b128 v0, v[2:5] offset:5712
	ds_write_b128 v0, v[6:9] offset:5984
	;; [unrolled: 1-line block ×3, first 2 shown]
	s_waitcnt lgkmcnt(0)
	s_barrier
	buffer_gl0_inv
	ds_read_b128 v[0:3], v108 offset:816
	ds_read_b128 v[4:7], v108 offset:544
	s_clause 0x3
	buffer_load_dword v10, off, s[60:63], 0 offset:548
	buffer_load_dword v11, off, s[60:63], 0 offset:552
	buffer_load_dword v12, off, s[60:63], 0 offset:556
	buffer_load_dword v13, off, s[60:63], 0 offset:560
	s_waitcnt vmcnt(0) lgkmcnt(1)
	v_mul_f64 v[8:9], v[12:13], v[2:3]
	v_fma_f64 v[36:37], v[10:11], v[0:1], v[8:9]
	v_mul_f64 v[0:1], v[12:13], v[0:1]
	v_fma_f64 v[38:39], v[10:11], v[2:3], -v[0:1]
	ds_read_b128 v[0:3], v108 offset:1632
	ds_read_b128 v[8:11], v108 offset:1904
	s_clause 0x3
	buffer_load_dword v14, off, s[60:63], 0 offset:532
	buffer_load_dword v15, off, s[60:63], 0 offset:536
	buffer_load_dword v16, off, s[60:63], 0 offset:540
	buffer_load_dword v17, off, s[60:63], 0 offset:544
	s_waitcnt vmcnt(0) lgkmcnt(1)
	v_mul_f64 v[12:13], v[16:17], v[2:3]
	v_fma_f64 v[40:41], v[14:15], v[0:1], v[12:13]
	v_mul_f64 v[0:1], v[16:17], v[0:1]
	v_fma_f64 v[42:43], v[14:15], v[2:3], -v[0:1]
	;; [unrolled: 12-line block ×3, first 2 shown]
	ds_read_b128 v[0:3], v108 offset:4896
	ds_read_b128 v[16:19], v108 offset:5168
	s_clause 0x3
	buffer_load_dword v22, off, s[60:63], 0 offset:804
	buffer_load_dword v23, off, s[60:63], 0 offset:808
	buffer_load_dword v24, off, s[60:63], 0 offset:812
	buffer_load_dword v25, off, s[60:63], 0 offset:816
	s_waitcnt vmcnt(0) lgkmcnt(1)
	v_mul_f64 v[20:21], v[24:25], v[2:3]
	v_fma_f64 v[48:49], v[22:23], v[0:1], v[20:21]
	v_mul_f64 v[0:1], v[24:25], v[0:1]
	v_add_f64 v[48:49], v[40:41], -v[48:49]
	v_fma_f64 v[50:51], v[22:23], v[2:3], -v[0:1]
	ds_read_b128 v[0:3], v108 offset:2448
	ds_read_b128 v[20:23], v108 offset:2176
	s_clause 0x3
	buffer_load_dword v26, off, s[60:63], 0 offset:500
	buffer_load_dword v27, off, s[60:63], 0 offset:504
	;; [unrolled: 1-line block ×4, first 2 shown]
	v_add_f64 v[50:51], v[42:43], -v[50:51]
	s_waitcnt vmcnt(0) lgkmcnt(1)
	v_mul_f64 v[24:25], v[28:29], v[2:3]
	v_fma_f64 v[52:53], v[26:27], v[0:1], v[24:25]
	v_mul_f64 v[0:1], v[28:29], v[0:1]
	v_fma_f64 v[54:55], v[26:27], v[2:3], -v[0:1]
	ds_read_b128 v[0:3], v108 offset:4080
	ds_read_b128 v[24:27], v108 offset:3808
	s_clause 0x3
	buffer_load_dword v30, off, s[60:63], 0 offset:724
	buffer_load_dword v31, off, s[60:63], 0 offset:728
	;; [unrolled: 1-line block ×4, first 2 shown]
	s_waitcnt vmcnt(0) lgkmcnt(1)
	v_mul_f64 v[28:29], v[32:33], v[2:3]
	v_fma_f64 v[56:57], v[30:31], v[0:1], v[28:29]
	v_mul_f64 v[0:1], v[32:33], v[0:1]
	v_add_f64 v[56:57], v[36:37], -v[56:57]
	v_fma_f64 v[58:59], v[30:31], v[2:3], -v[0:1]
	ds_read_b128 v[0:3], v108 offset:5712
	ds_read_b128 v[28:31], v108 offset:5440
	s_clause 0x3
	buffer_load_dword v62, off, s[60:63], 0 offset:772
	buffer_load_dword v63, off, s[60:63], 0 offset:776
	;; [unrolled: 1-line block ×4, first 2 shown]
	v_add_f64 v[58:59], v[38:39], -v[58:59]
	s_waitcnt vmcnt(0) lgkmcnt(1)
	v_mul_f64 v[32:33], v[64:65], v[2:3]
	v_fma_f64 v[60:61], v[62:63], v[0:1], v[32:33]
	v_mul_f64 v[0:1], v[64:65], v[0:1]
	v_add_f64 v[60:61], v[52:53], -v[60:61]
	v_fma_f64 v[62:63], v[62:63], v[2:3], -v[0:1]
	ds_read_b128 v[0:3], v108 offset:1088
	ds_read_b128 v[32:35], v108 offset:1360
	s_clause 0x7
	buffer_load_dword v66, off, s[60:63], 0 offset:740
	buffer_load_dword v67, off, s[60:63], 0 offset:744
	buffer_load_dword v68, off, s[60:63], 0 offset:748
	buffer_load_dword v69, off, s[60:63], 0 offset:752
	buffer_load_dword v70, off, s[60:63], 0 offset:836
	buffer_load_dword v71, off, s[60:63], 0 offset:840
	buffer_load_dword v72, off, s[60:63], 0 offset:844
	buffer_load_dword v73, off, s[60:63], 0 offset:848
	v_add_f64 v[62:63], v[54:55], -v[62:63]
	s_waitcnt vmcnt(4) lgkmcnt(1)
	v_mul_f64 v[64:65], v[68:69], v[2:3]
	v_fma_f64 v[64:65], v[66:67], v[0:1], v[64:65]
	v_mul_f64 v[0:1], v[68:69], v[0:1]
	v_fma_f64 v[66:67], v[66:67], v[2:3], -v[0:1]
	s_waitcnt vmcnt(0)
	v_mul_f64 v[0:1], v[72:73], v[10:11]
	v_fma_f64 v[68:69], v[70:71], v[8:9], v[0:1]
	v_mul_f64 v[0:1], v[72:73], v[8:9]
	v_fma_f64 v[70:71], v[70:71], v[10:11], -v[0:1]
	ds_read_b128 v[0:3], v108 offset:2720
	ds_read_b128 v[8:11], v108 offset:2992
	s_clause 0x3
	buffer_load_dword v78, off, s[60:63], 0 offset:756
	buffer_load_dword v79, off, s[60:63], 0 offset:760
	;; [unrolled: 1-line block ×4, first 2 shown]
	s_waitcnt vmcnt(0) lgkmcnt(1)
	v_mul_f64 v[72:73], v[80:81], v[2:3]
	v_fma_f64 v[72:73], v[78:79], v[0:1], v[72:73]
	v_mul_f64 v[0:1], v[80:81], v[0:1]
	s_clause 0x3
	buffer_load_dword v80, off, s[60:63], 0 offset:852
	buffer_load_dword v81, off, s[60:63], 0 offset:856
	;; [unrolled: 1-line block ×4, first 2 shown]
	v_fma_f64 v[74:75], v[78:79], v[2:3], -v[0:1]
	s_waitcnt vmcnt(0)
	v_mul_f64 v[0:1], v[82:83], v[14:15]
	v_fma_f64 v[78:79], v[80:81], v[12:13], v[0:1]
	v_mul_f64 v[0:1], v[82:83], v[12:13]
	v_fma_f64 v[80:81], v[80:81], v[14:15], -v[0:1]
	ds_read_b128 v[0:3], v108 offset:4352
	ds_read_b128 v[12:15], v108 offset:4624
	s_clause 0x7
	buffer_load_dword v84, off, s[60:63], 0 offset:788
	buffer_load_dword v85, off, s[60:63], 0 offset:792
	;; [unrolled: 1-line block ×8, first 2 shown]
	s_waitcnt vmcnt(4) lgkmcnt(1)
	v_mul_f64 v[82:83], v[86:87], v[2:3]
	v_fma_f64 v[82:83], v[84:85], v[0:1], v[82:83]
	v_mul_f64 v[0:1], v[86:87], v[0:1]
	v_add_f64 v[82:83], v[64:65], -v[82:83]
	v_fma_f64 v[84:85], v[84:85], v[2:3], -v[0:1]
	s_waitcnt vmcnt(0)
	v_mul_f64 v[0:1], v[90:91], v[18:19]
	v_add_f64 v[84:85], v[66:67], -v[84:85]
	v_fma_f64 v[86:87], v[88:89], v[16:17], v[0:1]
	v_mul_f64 v[0:1], v[90:91], v[16:17]
	v_add_f64 v[86:87], v[68:69], -v[86:87]
	v_fma_f64 v[88:89], v[88:89], v[18:19], -v[0:1]
	ds_read_b128 v[0:3], v108 offset:5984
	ds_read_b128 v[16:19], v108 offset:6256
	s_clause 0x3
	buffer_load_dword v92, off, s[60:63], 0 offset:820
	buffer_load_dword v93, off, s[60:63], 0 offset:824
	;; [unrolled: 1-line block ×4, first 2 shown]
	v_add_f64 v[88:89], v[70:71], -v[88:89]
	s_waitcnt vmcnt(0) lgkmcnt(1)
	v_mul_f64 v[90:91], v[94:95], v[2:3]
	v_fma_f64 v[90:91], v[92:93], v[0:1], v[90:91]
	v_mul_f64 v[0:1], v[94:95], v[0:1]
	v_add_f64 v[90:91], v[72:73], -v[90:91]
	v_fma_f64 v[92:93], v[92:93], v[2:3], -v[0:1]
	v_mul_f64 v[0:1], v[222:223], v[34:35]
	v_add_f64 v[92:93], v[74:75], -v[92:93]
	v_fma_f64 v[94:95], v[220:221], v[32:33], v[0:1]
	v_mul_f64 v[0:1], v[222:223], v[32:33]
	v_fma_f64 v[96:97], v[220:221], v[34:35], -v[0:1]
	s_clause 0x3
	buffer_load_dword v32, off, s[60:63], 0 offset:884
	buffer_load_dword v33, off, s[60:63], 0 offset:888
	;; [unrolled: 1-line block ×4, first 2 shown]
	s_waitcnt vmcnt(0)
	v_mul_f64 v[0:1], v[34:35], v[22:23]
	v_fma_f64 v[98:99], v[32:33], v[20:21], v[0:1]
	v_mul_f64 v[0:1], v[34:35], v[20:21]
	v_fma_f64 v[100:101], v[32:33], v[22:23], -v[0:1]
	v_mul_f64 v[0:1], v[230:231], v[10:11]
	v_fma_f64 v[102:103], v[228:229], v[8:9], v[0:1]
	v_mul_f64 v[0:1], v[230:231], v[8:9]
	v_fma_f64 v[104:105], v[228:229], v[10:11], -v[0:1]
	v_mul_f64 v[0:1], v[218:219], v[26:27]
	v_fma_f64 v[20:21], v[216:217], v[24:25], v[0:1]
	v_mul_f64 v[0:1], v[218:219], v[24:25]
	v_add_f64 v[20:21], v[4:5], -v[20:21]
	v_fma_f64 v[22:23], v[216:217], v[26:27], -v[0:1]
	v_mul_f64 v[0:1], v[234:235], v[30:31]
	v_add_f64 v[22:23], v[6:7], -v[22:23]
	v_fma_f64 v[24:25], v[232:233], v[28:29], v[0:1]
	v_mul_f64 v[0:1], v[234:235], v[28:29]
	v_add_f64 v[129:130], v[98:99], -v[24:25]
	v_fma_f64 v[26:27], v[232:233], v[30:31], -v[0:1]
	v_mul_f64 v[0:1], v[226:227], v[14:15]
	v_add_f64 v[143:144], v[22:23], -v[129:130]
	v_add_f64 v[127:128], v[100:101], -v[26:27]
	v_fma_f64 v[28:29], v[224:225], v[12:13], v[0:1]
	v_mul_f64 v[0:1], v[226:227], v[12:13]
	v_fma_f64 v[145:146], v[22:23], 2.0, -v[143:144]
	v_add_f64 v[139:140], v[20:21], v[127:128]
	v_add_f64 v[131:132], v[94:95], -v[28:29]
	v_fma_f64 v[30:31], v[224:225], v[14:15], -v[0:1]
	s_waitcnt lgkmcnt(0)
	v_mul_f64 v[0:1], v[238:239], v[18:19]
	v_fma_f64 v[28:29], v[36:37], 2.0, -v[56:57]
	v_fma_f64 v[141:142], v[20:21], 2.0, -v[139:140]
	v_add_f64 v[133:134], v[96:97], -v[30:31]
	v_fma_f64 v[32:33], v[236:237], v[16:17], v[0:1]
	v_mul_f64 v[0:1], v[238:239], v[16:17]
	v_fma_f64 v[30:31], v[52:53], 2.0, -v[60:61]
	v_add_f64 v[135:136], v[102:103], -v[32:33]
	v_fma_f64 v[34:35], v[236:237], v[18:19], -v[0:1]
	ds_read_b128 v[0:3], v108
	ds_read_b128 v[8:11], v108 offset:272
	v_fma_f64 v[32:33], v[38:39], 2.0, -v[58:59]
	s_waitcnt lgkmcnt(1)
	v_add_f64 v[12:13], v[0:1], -v[44:45]
	v_add_f64 v[14:15], v[2:3], -v[46:47]
	;; [unrolled: 1-line block ×3, first 2 shown]
	v_fma_f64 v[34:35], v[54:55], 2.0, -v[62:63]
	v_add_f64 v[106:107], v[12:13], v[50:51]
	v_add_f64 v[111:112], v[14:15], -v[48:49]
	v_fma_f64 v[44:45], v[0:1], 2.0, -v[12:13]
	v_fma_f64 v[46:47], v[2:3], 2.0, -v[14:15]
	v_add_f64 v[34:35], v[32:33], -v[34:35]
	v_fma_f64 v[109:110], v[12:13], 2.0, -v[106:107]
	v_fma_f64 v[113:114], v[14:15], 2.0, -v[111:112]
	v_add_f64 v[14:15], v[56:57], v[62:63]
	v_add_f64 v[12:13], v[58:59], -v[60:61]
	v_fma_f64 v[2:3], v[56:57], 2.0, -v[14:15]
	v_fma_f64 v[0:1], v[58:59], 2.0, -v[12:13]
	v_fma_f64 v[16:17], v[2:3], s[0:1], v[109:110]
	v_fma_f64 v[18:19], v[0:1], s[0:1], v[113:114]
	;; [unrolled: 1-line block ×8, first 2 shown]
	s_waitcnt lgkmcnt(0)
	v_add_f64 v[16:17], v[8:9], -v[78:79]
	v_add_f64 v[18:19], v[10:11], -v[80:81]
	v_add_f64 v[115:116], v[16:17], v[88:89]
	v_add_f64 v[119:120], v[18:19], -v[86:87]
	v_fma_f64 v[78:79], v[8:9], 2.0, -v[16:17]
	v_fma_f64 v[80:81], v[10:11], 2.0, -v[18:19]
	;; [unrolled: 1-line block ×4, first 2 shown]
	v_add_f64 v[18:19], v[82:83], v[92:93]
	v_add_f64 v[16:17], v[84:85], -v[90:91]
	v_fma_f64 v[10:11], v[82:83], 2.0, -v[18:19]
	v_fma_f64 v[8:9], v[84:85], 2.0, -v[16:17]
	v_fma_f64 v[123:124], v[10:11], s[0:1], v[117:118]
	v_fma_f64 v[125:126], v[8:9], s[0:1], v[121:122]
	;; [unrolled: 1-line block ×8, first 2 shown]
	v_fma_f64 v[123:124], v[4:5], 2.0, -v[20:21]
	v_fma_f64 v[125:126], v[6:7], 2.0, -v[22:23]
	v_add_f64 v[22:23], v[131:132], v[137:138]
	v_add_f64 v[20:21], v[133:134], -v[135:136]
	v_fma_f64 v[6:7], v[131:132], 2.0, -v[22:23]
	v_fma_f64 v[4:5], v[133:134], 2.0, -v[20:21]
	v_fma_f64 v[24:25], v[6:7], s[0:1], v[141:142]
	v_fma_f64 v[26:27], v[4:5], s[0:1], v[145:146]
	;; [unrolled: 1-line block ×8, first 2 shown]
	v_fma_f64 v[24:25], v[40:41], 2.0, -v[48:49]
	v_fma_f64 v[26:27], v[42:43], 2.0, -v[50:51]
	v_add_f64 v[40:41], v[28:29], -v[30:31]
	s_mov_b32 s4, 0x14141414
	s_mov_b32 s5, 0x3f641414
	s_mul_hi_u32 s1, s8, 24
	v_add_f64 v[36:37], v[44:45], -v[24:25]
	v_add_f64 v[38:39], v[46:47], -v[26:27]
	v_fma_f64 v[24:25], v[28:29], 2.0, -v[40:41]
	v_fma_f64 v[26:27], v[32:33], 2.0, -v[34:35]
	;; [unrolled: 1-line block ×4, first 2 shown]
	v_add_f64 v[24:25], v[30:31], -v[24:25]
	v_add_f64 v[26:27], v[42:43], -v[26:27]
	v_fma_f64 v[28:29], v[30:31], 2.0, -v[24:25]
	v_fma_f64 v[30:31], v[42:43], 2.0, -v[26:27]
	;; [unrolled: 1-line block ×3, first 2 shown]
	ds_write_b128 v108, v[28:31]
	v_fma_f64 v[28:29], v[109:110], 2.0, -v[0:1]
	v_fma_f64 v[30:31], v[113:114], 2.0, -v[2:3]
	ds_write_b128 v108, v[28:31] offset:816
	v_add_f64 v[28:29], v[36:37], v[34:35]
	v_add_f64 v[30:31], v[38:39], -v[40:41]
	v_fma_f64 v[40:41], v[139:140], 2.0, -v[20:21]
	v_fma_f64 v[32:33], v[36:37], 2.0, -v[28:29]
	v_fma_f64 v[34:35], v[38:39], 2.0, -v[30:31]
	ds_write_b128 v108, v[32:35] offset:1632
	v_fma_f64 v[32:33], v[106:107], 2.0, -v[12:13]
	v_fma_f64 v[34:35], v[111:112], 2.0, -v[14:15]
	ds_write_b128 v108, v[32:35] offset:2448
	ds_write_b128 v108, v[24:27] offset:3264
	;; [unrolled: 1-line block ×5, first 2 shown]
	v_fma_f64 v[0:1], v[68:69], 2.0, -v[86:87]
	v_fma_f64 v[2:3], v[70:71], 2.0, -v[88:89]
	;; [unrolled: 1-line block ×6, first 2 shown]
	v_add_f64 v[28:29], v[78:79], -v[0:1]
	v_add_f64 v[30:31], v[80:81], -v[2:3]
	;; [unrolled: 1-line block ×4, first 2 shown]
	v_fma_f64 v[32:33], v[78:79], 2.0, -v[28:29]
	v_fma_f64 v[34:35], v[80:81], 2.0, -v[30:31]
	;; [unrolled: 1-line block ×4, first 2 shown]
	v_add_f64 v[0:1], v[32:33], -v[0:1]
	v_add_f64 v[2:3], v[34:35], -v[2:3]
	v_fma_f64 v[12:13], v[32:33], 2.0, -v[0:1]
	v_fma_f64 v[14:15], v[34:35], 2.0, -v[2:3]
	ds_write_b128 v108, v[12:15] offset:272
	v_fma_f64 v[12:13], v[117:118], 2.0, -v[8:9]
	v_fma_f64 v[14:15], v[121:122], 2.0, -v[10:11]
	ds_write_b128 v77, v[12:15] offset:816
	v_add_f64 v[12:13], v[28:29], v[26:27]
	v_add_f64 v[14:15], v[30:31], -v[24:25]
	v_fma_f64 v[24:25], v[28:29], 2.0, -v[12:13]
	v_fma_f64 v[26:27], v[30:31], 2.0, -v[14:15]
	;; [unrolled: 1-line block ×4, first 2 shown]
	ds_write_b128 v77, v[24:27] offset:1632
	v_fma_f64 v[24:25], v[115:116], 2.0, -v[16:17]
	v_fma_f64 v[26:27], v[119:120], 2.0, -v[18:19]
	ds_write_b128 v77, v[24:27] offset:2448
	ds_write_b128 v77, v[0:3] offset:3264
	v_fma_f64 v[0:1], v[98:99], 2.0, -v[129:130]
	v_fma_f64 v[2:3], v[100:101], 2.0, -v[127:128]
	;; [unrolled: 1-line block ×4, first 2 shown]
	v_add_f64 v[36:37], v[123:124], -v[0:1]
	v_add_f64 v[38:39], v[125:126], -v[2:3]
	;; [unrolled: 1-line block ×4, first 2 shown]
	v_fma_f64 v[32:33], v[123:124], 2.0, -v[36:37]
	v_fma_f64 v[34:35], v[125:126], 2.0, -v[38:39]
	;; [unrolled: 1-line block ×4, first 2 shown]
	v_add_f64 v[24:25], v[36:37], v[30:31]
	v_add_f64 v[26:27], v[38:39], -v[28:29]
	v_add_f64 v[0:1], v[32:33], -v[0:1]
	v_add_f64 v[2:3], v[34:35], -v[2:3]
	v_fma_f64 v[36:37], v[36:37], 2.0, -v[24:25]
	v_fma_f64 v[38:39], v[38:39], 2.0, -v[26:27]
	;; [unrolled: 1-line block ×6, first 2 shown]
	ds_write_b128 v77, v[8:11] offset:4080
	ds_write_b128 v77, v[12:15] offset:4896
	;; [unrolled: 1-line block ×11, first 2 shown]
	s_waitcnt lgkmcnt(0)
	s_barrier
	buffer_gl0_inv
	ds_read_b128 v[0:3], v108
	ds_read_b128 v[4:7], v108 offset:384
	s_clause 0x5
	buffer_load_dword v26, off, s[60:63], 0 offset:464
	buffer_load_dword v27, off, s[60:63], 0 offset:468
	;; [unrolled: 1-line block ×6, first 2 shown]
	v_mad_u64_u32 v[22:23], null, s8, v214, 0
	s_waitcnt vmcnt(2) lgkmcnt(1)
	v_mul_f64 v[12:13], v[28:29], v[2:3]
	v_mul_f64 v[16:17], v[28:29], v[0:1]
	s_waitcnt vmcnt(1)
	v_mov_b32_e32 v30, v8
	s_waitcnt vmcnt(0)
	ds_read_b128 v[8:11], v108 offset:768
	v_mad_u64_u32 v[20:21], null, s10, v30, 0
	v_fma_f64 v[18:19], v[26:27], v[0:1], v[12:13]
	ds_read_b128 v[12:15], v108 offset:1152
	s_clause 0x3
	buffer_load_dword v40, off, s[60:63], 0 offset:448
	buffer_load_dword v41, off, s[60:63], 0 offset:452
	;; [unrolled: 1-line block ×4, first 2 shown]
	v_fma_f64 v[26:27], v[26:27], v[2:3], -v[16:17]
	ds_read_b128 v[0:3], v108 offset:1536
	s_clause 0x7
	buffer_load_dword v48, off, s[60:63], 0 offset:432
	buffer_load_dword v49, off, s[60:63], 0 offset:436
	;; [unrolled: 1-line block ×8, first 2 shown]
	v_mov_b32_e32 v16, v21
	v_mov_b32_e32 v17, v23
	v_mad_u64_u32 v[30:31], null, s11, v30, v[16:17]
	v_mov_b32_e32 v21, v30
	v_mad_u64_u32 v[31:32], null, s9, v214, v[17:18]
	v_mul_f64 v[16:17], v[18:19], s[4:5]
	v_mul_f64 v[18:19], v[26:27], s[4:5]
	v_lshlrev_b64 v[20:21], 4, v[20:21]
	v_mov_b32_e32 v23, v31
	v_add_co_u32 v59, s0, s2, v20
	v_add_co_ci_u32_e64 v60, s0, s3, v21, s0
	v_lshlrev_b64 v[22:23], 4, v[22:23]
	s_waitcnt vmcnt(8) lgkmcnt(3)
	v_mul_f64 v[24:25], v[42:43], v[6:7]
	v_mul_f64 v[28:29], v[42:43], v[4:5]
	s_waitcnt vmcnt(4) lgkmcnt(2)
	v_mul_f64 v[32:33], v[50:51], v[10:11]
	v_mul_f64 v[34:35], v[50:51], v[8:9]
	;; [unrolled: 3-line block ×3, first 2 shown]
	v_fma_f64 v[24:25], v[40:41], v[4:5], v[24:25]
	v_fma_f64 v[26:27], v[40:41], v[6:7], -v[28:29]
	ds_read_b128 v[4:7], v108 offset:1920
	s_clause 0x3
	buffer_load_dword v40, off, s[60:63], 0 offset:400
	buffer_load_dword v41, off, s[60:63], 0 offset:404
	;; [unrolled: 1-line block ×4, first 2 shown]
	v_fma_f64 v[20:21], v[48:49], v[8:9], v[32:33]
	v_fma_f64 v[32:33], v[48:49], v[10:11], -v[34:35]
	v_fma_f64 v[34:35], v[44:45], v[12:13], v[36:37]
	v_fma_f64 v[38:39], v[44:45], v[14:15], -v[38:39]
	ds_read_b128 v[12:15], v108 offset:2304
	s_clause 0x3
	buffer_load_dword v61, off, s[60:63], 0 offset:352
	buffer_load_dword v62, off, s[60:63], 0 offset:356
	;; [unrolled: 1-line block ×4, first 2 shown]
	v_add_co_u32 v36, s0, v59, v22
	v_add_co_ci_u32_e64 v37, s0, v60, v23, s0
	buffer_load_dword v50, off, s[60:63], 0 offset:196 ; 4-byte Folded Reload
	s_mul_i32 s0, s9, 24
	s_add_i32 s1, s1, s0
	s_mul_i32 s0, s8, 24
	s_lshl_b64 s[2:3], s[0:1], 4
	s_mul_hi_u32 s1, s8, 0x300
	v_mul_f64 v[8:9], v[24:25], s[4:5]
	v_mul_f64 v[10:11], v[26:27], s[4:5]
	;; [unrolled: 1-line block ×4, first 2 shown]
	s_waitcnt vmcnt(5) lgkmcnt(2)
	v_mul_f64 v[28:29], v[42:43], v[2:3]
	v_mul_f64 v[30:31], v[42:43], v[0:1]
	v_add_co_u32 v42, s0, v36, s2
	v_add_co_ci_u32_e64 v43, s0, s3, v37, s0
	s_waitcnt vmcnt(1) lgkmcnt(1)
	v_mul_f64 v[46:47], v[63:64], v[4:5]
	v_add_co_u32 v38, s0, v42, s2
	v_add_co_ci_u32_e64 v39, s0, s3, v43, s0
	s_waitcnt vmcnt(0)
	v_mad_u64_u32 v[44:45], null, s8, v50, 0
	v_add_co_u32 v55, s0, v38, s2
	v_add_co_ci_u32_e64 v56, s0, s3, v39, s0
	v_fma_f64 v[28:29], v[40:41], v[0:1], v[28:29]
	v_fma_f64 v[30:31], v[40:41], v[2:3], -v[30:31]
	v_mul_f64 v[40:41], v[63:64], v[6:7]
	v_mul_f64 v[0:1], v[20:21], s[4:5]
	ds_read_b128 v[20:23], v108 offset:2688
	s_clause 0x3
	buffer_load_dword v63, off, s[60:63], 0 offset:368
	buffer_load_dword v64, off, s[60:63], 0 offset:372
	;; [unrolled: 1-line block ×4, first 2 shown]
	v_mul_f64 v[2:3], v[32:33], s[4:5]
	ds_read_b128 v[32:35], v108 offset:3072
	v_mad_u64_u32 v[50:51], null, s9, v50, v[45:46]
	v_fma_f64 v[6:7], v[61:62], v[6:7], -v[46:47]
	v_mov_b32_e32 v45, v50
	v_mul_f64 v[28:29], v[28:29], s[4:5]
	v_mul_f64 v[30:31], v[30:31], s[4:5]
	v_fma_f64 v[4:5], v[61:62], v[4:5], v[40:41]
	v_mul_f64 v[6:7], v[6:7], s[4:5]
	v_mul_f64 v[4:5], v[4:5], s[4:5]
	s_waitcnt vmcnt(0) lgkmcnt(2)
	v_mul_f64 v[48:49], v[65:66], v[14:15]
	v_mul_f64 v[40:41], v[65:66], v[12:13]
	s_clause 0x3
	buffer_load_dword v65, off, s[60:63], 0 offset:384
	buffer_load_dword v66, off, s[60:63], 0 offset:388
	;; [unrolled: 1-line block ×4, first 2 shown]
	global_store_dwordx4 v[36:37], v[16:19], off
	global_store_dwordx4 v[42:43], v[8:11], off
	;; [unrolled: 1-line block ×4, first 2 shown]
	v_lshlrev_b64 v[8:9], 4, v[44:45]
	ds_read_b128 v[0:3], v108 offset:3456
	s_clause 0x4
	buffer_load_dword v42, off, s[60:63], 0 offset:336
	buffer_load_dword v43, off, s[60:63], 0 offset:340
	;; [unrolled: 1-line block ×5, first 2 shown]
	v_add_co_u32 v8, s0, v59, v8
	v_add_co_ci_u32_e64 v9, s0, v60, v9, s0
	s_mul_i32 s0, s9, 0x300
	s_add_i32 s1, s1, s0
	global_store_dwordx4 v[8:9], v[28:31], off
	ds_read_b128 v[8:11], v108 offset:3840
	v_add_co_u32 v36, s0, v55, s6
	v_add_co_ci_u32_e64 v37, s0, s1, v56, s0
	v_fma_f64 v[12:13], v[63:64], v[12:13], v[48:49]
	v_fma_f64 v[14:15], v[63:64], v[14:15], -v[40:41]
	v_add_co_u32 v40, s0, v36, s2
	v_add_co_ci_u32_e64 v41, s0, s3, v37, s0
	v_mul_f64 v[12:13], v[12:13], s[4:5]
	v_mul_f64 v[14:15], v[14:15], s[4:5]
	s_waitcnt vmcnt(5) lgkmcnt(3)
	v_mul_f64 v[51:52], v[67:68], v[22:23]
	v_mul_f64 v[53:54], v[67:68], v[20:21]
	s_waitcnt vmcnt(1) lgkmcnt(2)
	v_mul_f64 v[16:17], v[44:45], v[34:35]
	v_mul_f64 v[18:19], v[44:45], v[32:33]
	s_waitcnt vmcnt(0)
	v_mad_u64_u32 v[38:39], null, s8, v25, 0
	v_add_co_u32 v45, s0, v40, s2
	v_add_co_ci_u32_e64 v46, s0, s3, v41, s0
	v_mov_b32_e32 v24, v39
	v_fma_f64 v[20:21], v[65:66], v[20:21], v[51:52]
	v_fma_f64 v[22:23], v[65:66], v[22:23], -v[53:54]
	s_clause 0x3
	buffer_load_dword v49, off, s[60:63], 0 offset:320
	buffer_load_dword v50, off, s[60:63], 0 offset:324
	;; [unrolled: 1-line block ×4, first 2 shown]
	v_fma_f64 v[28:29], v[42:43], v[32:33], v[16:17]
	v_fma_f64 v[30:31], v[42:43], v[34:35], -v[18:19]
	v_mad_u64_u32 v[42:43], null, s9, v25, v[24:25]
	ds_read_b128 v[24:27], v108 offset:4608
	v_mov_b32_e32 v39, v42
	v_mul_f64 v[16:17], v[20:21], s[4:5]
	v_mul_f64 v[18:19], v[22:23], s[4:5]
	ds_read_b128 v[20:23], v108 offset:4224
	s_clause 0x3
	buffer_load_dword v61, off, s[60:63], 0 offset:304
	buffer_load_dword v62, off, s[60:63], 0 offset:308
	;; [unrolled: 1-line block ×4, first 2 shown]
	v_mul_f64 v[28:29], v[28:29], s[4:5]
	v_mul_f64 v[30:31], v[30:31], s[4:5]
	global_store_dwordx4 v[36:37], v[4:7], off
	global_store_dwordx4 v[40:41], v[12:15], off
	global_store_dwordx4 v[45:46], v[16:19], off
	s_clause 0x3
	buffer_load_dword v55, off, s[60:63], 0 offset:288
	buffer_load_dword v56, off, s[60:63], 0 offset:292
	;; [unrolled: 1-line block ×4, first 2 shown]
	v_lshlrev_b64 v[4:5], 4, v[38:39]
	v_add_co_u32 v12, s0, v59, v4
	v_add_co_ci_u32_e64 v13, s0, v60, v5, s0
	s_waitcnt vmcnt(8) lgkmcnt(3)
	v_mul_f64 v[32:33], v[51:52], v[2:3]
	v_mul_f64 v[34:35], v[51:52], v[0:1]
	v_fma_f64 v[32:33], v[49:50], v[0:1], v[32:33]
	s_waitcnt vmcnt(4) lgkmcnt(2)
	v_mul_f64 v[43:44], v[63:64], v[10:11]
	v_mul_f64 v[47:48], v[63:64], v[8:9]
	v_fma_f64 v[34:35], v[49:50], v[2:3], -v[34:35]
	ds_read_b128 v[0:3], v108 offset:4992
	s_clause 0x3
	buffer_load_dword v51, off, s[60:63], 0 offset:272
	buffer_load_dword v52, off, s[60:63], 0 offset:276
	;; [unrolled: 1-line block ×4, first 2 shown]
	global_store_dwordx4 v[12:13], v[28:31], off
	ds_read_b128 v[4:7], v108 offset:5376
	ds_read_b128 v[16:19], v108 offset:6144
	s_waitcnt vmcnt(4) lgkmcnt(3)
	v_mul_f64 v[36:37], v[57:58], v[22:23]
	v_mul_f64 v[38:39], v[57:58], v[20:21]
	v_mul_f64 v[12:13], v[32:33], s[4:5]
	v_fma_f64 v[42:43], v[61:62], v[8:9], v[43:44]
	v_fma_f64 v[47:48], v[61:62], v[10:11], -v[47:48]
	ds_read_b128 v[8:11], v108 offset:5760
	s_clause 0x3
	buffer_load_dword v69, off, s[60:63], 0 offset:240
	buffer_load_dword v70, off, s[60:63], 0 offset:244
	buffer_load_dword v71, off, s[60:63], 0 offset:248
	buffer_load_dword v72, off, s[60:63], 0 offset:252
	v_mul_f64 v[14:15], v[34:35], s[4:5]
	v_add_co_u32 v34, s0, v45, s6
	v_add_co_ci_u32_e64 v35, s0, s1, v46, s0
	v_mad_u64_u32 v[32:33], null, s8, v215, 0
	v_add_co_u32 v57, s0, v34, s2
	v_add_co_ci_u32_e64 v58, s0, s3, v35, s0
	v_fma_f64 v[28:29], v[55:56], v[20:21], v[36:37]
	v_fma_f64 v[30:31], v[55:56], v[22:23], -v[38:39]
	v_mul_f64 v[20:21], v[42:43], s[4:5]
	v_mul_f64 v[22:23], v[47:48], s[4:5]
	v_add_co_u32 v48, s0, v57, s2
	s_waitcnt vmcnt(4)
	v_mul_f64 v[40:41], v[53:54], v[26:27]
	v_mul_f64 v[49:50], v[53:54], v[24:25]
	s_waitcnt vmcnt(0) lgkmcnt(3)
	v_mul_f64 v[44:45], v[71:72], v[0:1]
	v_fma_f64 v[36:37], v[51:52], v[24:25], v[40:41]
	v_mul_f64 v[40:41], v[71:72], v[2:3]
	s_clause 0xb
	buffer_load_dword v71, off, s[60:63], 0 offset:256
	buffer_load_dword v72, off, s[60:63], 0 offset:260
	buffer_load_dword v73, off, s[60:63], 0 offset:264
	buffer_load_dword v74, off, s[60:63], 0 offset:268
	buffer_load_dword v65, off, s[60:63], 0 offset:224
	buffer_load_dword v66, off, s[60:63], 0 offset:228
	buffer_load_dword v67, off, s[60:63], 0 offset:232
	buffer_load_dword v68, off, s[60:63], 0 offset:236
	buffer_load_dword v61, off, s[60:63], 0 offset:208
	buffer_load_dword v62, off, s[60:63], 0 offset:212
	buffer_load_dword v63, off, s[60:63], 0 offset:216
	buffer_load_dword v64, off, s[60:63], 0 offset:220
	v_fma_f64 v[38:39], v[51:52], v[26:27], -v[49:50]
	v_mov_b32_e32 v24, v33
	v_mul_f64 v[26:27], v[30:31], s[4:5]
	v_mad_u64_u32 v[24:25], null, s9, v215, v[24:25]
	v_mov_b32_e32 v33, v24
	v_mul_f64 v[24:25], v[28:29], s[4:5]
	v_mul_f64 v[28:29], v[36:37], s[4:5]
	v_fma_f64 v[0:1], v[69:70], v[0:1], v[40:41]
	v_lshlrev_b64 v[32:33], 4, v[32:33]
	v_fma_f64 v[36:37], v[69:70], v[2:3], -v[44:45]
	v_mul_f64 v[30:31], v[38:39], s[4:5]
	s_waitcnt vmcnt(8) lgkmcnt(2)
	v_mul_f64 v[49:50], v[73:74], v[6:7]
	v_mul_f64 v[51:52], v[73:74], v[4:5]
	s_waitcnt vmcnt(0) lgkmcnt(1)
	v_mul_f64 v[46:47], v[63:64], v[18:19]
	v_mul_f64 v[55:56], v[63:64], v[16:17]
	s_waitcnt lgkmcnt(0)
	v_mul_f64 v[53:54], v[67:68], v[10:11]
	v_mul_f64 v[42:43], v[67:68], v[8:9]
	v_fma_f64 v[38:39], v[71:72], v[4:5], v[49:50]
	v_fma_f64 v[40:41], v[71:72], v[6:7], -v[51:52]
	v_fma_f64 v[16:17], v[61:62], v[16:17], v[46:47]
	buffer_load_dword v46, off, s[60:63], 0 offset:204 ; 4-byte Folded Reload
	v_fma_f64 v[44:45], v[65:66], v[8:9], v[53:54]
	v_fma_f64 v[42:43], v[65:66], v[10:11], -v[42:43]
	v_fma_f64 v[18:19], v[61:62], v[18:19], -v[55:56]
	v_add_co_ci_u32_e64 v49, s0, s3, v58, s0
	v_add_co_u32 v2, s0, v59, v32
	v_add_co_ci_u32_e64 v3, s0, v60, v33, s0
	global_store_dwordx4 v[34:35], v[12:15], off
	global_store_dwordx4 v[57:58], v[20:23], off
	;; [unrolled: 1-line block ×4, first 2 shown]
	v_mul_f64 v[2:3], v[0:1], s[4:5]
	v_mul_f64 v[4:5], v[36:37], s[4:5]
	;; [unrolled: 1-line block ×8, first 2 shown]
	v_add_co_u32 v18, s0, v48, s6
	v_add_co_ci_u32_e64 v19, s0, s1, v49, s0
	v_add_co_u32 v20, s0, v18, s2
	v_add_co_ci_u32_e64 v21, s0, s3, v19, s0
	s_waitcnt vmcnt(0)
	v_mad_u64_u32 v[32:33], null, s8, v46, 0
	v_mov_b32_e32 v0, v33
	v_mad_u64_u32 v[0:1], null, s9, v46, v[0:1]
	v_mov_b32_e32 v33, v0
	v_add_co_u32 v0, s0, v20, s2
	v_add_co_ci_u32_e64 v1, s0, s3, v21, s0
	v_lshlrev_b64 v[22:23], 4, v[32:33]
	v_add_co_u32 v22, s0, v59, v22
	v_add_co_ci_u32_e64 v23, s0, v60, v23, s0
	global_store_dwordx4 v[18:19], v[2:5], off
	global_store_dwordx4 v[20:21], v[6:9], off
	;; [unrolled: 1-line block ×4, first 2 shown]
	s_and_b32 exec_lo, exec_lo, vcc_lo
	s_cbranch_execz .LBB0_15
; %bb.14:
	s_clause 0x1
	buffer_load_dword v16, off, s[60:63], 0 offset:164
	buffer_load_dword v17, off, s[60:63], 0 offset:168
	s_mul_i32 s0, s9, 0xffffea90
	s_sub_i32 s0, s0, s8
	s_waitcnt vmcnt(0)
	global_load_dwordx4 v[2:5], v[16:17], off offset:272
	ds_read_b128 v[6:9], v108 offset:272
	ds_read_b128 v[10:13], v108 offset:656
	s_waitcnt vmcnt(0) lgkmcnt(1)
	v_mul_f64 v[14:15], v[8:9], v[4:5]
	v_mul_f64 v[4:5], v[6:7], v[4:5]
	v_fma_f64 v[6:7], v[6:7], v[2:3], v[14:15]
	v_fma_f64 v[4:5], v[2:3], v[8:9], -v[4:5]
	v_mul_f64 v[2:3], v[6:7], s[4:5]
	v_mul_f64 v[4:5], v[4:5], s[4:5]
	v_mad_u64_u32 v[6:7], null, 0xffffea90, s8, v[0:1]
	v_add_nc_u32_e32 v7, s0, v7
	global_store_dwordx4 v[6:7], v[2:5], off
	global_load_dwordx4 v[0:3], v[16:17], off offset:656
	s_waitcnt vmcnt(0) lgkmcnt(0)
	v_mul_f64 v[4:5], v[12:13], v[2:3]
	v_mul_f64 v[2:3], v[10:11], v[2:3]
	v_fma_f64 v[4:5], v[10:11], v[0:1], v[4:5]
	v_fma_f64 v[2:3], v[0:1], v[12:13], -v[2:3]
	v_add_co_u32 v12, vcc_lo, v6, s2
	v_add_co_ci_u32_e32 v13, vcc_lo, s3, v7, vcc_lo
	v_mul_f64 v[0:1], v[4:5], s[4:5]
	v_mul_f64 v[2:3], v[2:3], s[4:5]
	global_store_dwordx4 v[12:13], v[0:3], off
	global_load_dwordx4 v[0:3], v[16:17], off offset:1040
	ds_read_b128 v[4:7], v108 offset:1040
	ds_read_b128 v[8:11], v108 offset:1424
	s_waitcnt vmcnt(0) lgkmcnt(1)
	v_mul_f64 v[14:15], v[6:7], v[2:3]
	v_mul_f64 v[2:3], v[4:5], v[2:3]
	v_fma_f64 v[4:5], v[4:5], v[0:1], v[14:15]
	v_fma_f64 v[2:3], v[0:1], v[6:7], -v[2:3]
	v_mul_f64 v[0:1], v[4:5], s[4:5]
	v_mul_f64 v[2:3], v[2:3], s[4:5]
	v_add_co_u32 v4, vcc_lo, v12, s2
	v_add_co_ci_u32_e32 v5, vcc_lo, s3, v13, vcc_lo
	v_add_co_u32 v12, vcc_lo, v4, s2
	v_add_co_ci_u32_e32 v13, vcc_lo, s3, v5, vcc_lo
	global_store_dwordx4 v[4:5], v[0:3], off
	global_load_dwordx4 v[0:3], v[16:17], off offset:1424
	s_waitcnt vmcnt(0) lgkmcnt(0)
	v_mul_f64 v[6:7], v[10:11], v[2:3]
	v_mul_f64 v[2:3], v[8:9], v[2:3]
	v_fma_f64 v[6:7], v[8:9], v[0:1], v[6:7]
	v_fma_f64 v[2:3], v[0:1], v[10:11], -v[2:3]
	v_mul_f64 v[0:1], v[6:7], s[4:5]
	v_mul_f64 v[2:3], v[2:3], s[4:5]
	global_store_dwordx4 v[12:13], v[0:3], off
	global_load_dwordx4 v[0:3], v[16:17], off offset:1808
	ds_read_b128 v[4:7], v108 offset:1808
	ds_read_b128 v[8:11], v108 offset:2192
	s_waitcnt vmcnt(0) lgkmcnt(1)
	v_mul_f64 v[14:15], v[6:7], v[2:3]
	v_mul_f64 v[2:3], v[4:5], v[2:3]
	v_fma_f64 v[4:5], v[4:5], v[0:1], v[14:15]
	v_fma_f64 v[2:3], v[0:1], v[6:7], -v[2:3]
	v_mul_f64 v[0:1], v[4:5], s[4:5]
	v_mul_f64 v[2:3], v[2:3], s[4:5]
	v_add_co_u32 v4, vcc_lo, v12, s2
	v_add_co_ci_u32_e32 v5, vcc_lo, s3, v13, vcc_lo
	v_add_co_u32 v12, vcc_lo, v4, s2
	v_add_co_ci_u32_e32 v13, vcc_lo, s3, v5, vcc_lo
	global_store_dwordx4 v[4:5], v[0:3], off
	s_clause 0x1
	buffer_load_dword v18, off, s[60:63], 0 offset:180
	buffer_load_dword v19, off, s[60:63], 0 offset:184
	s_waitcnt vmcnt(0)
	global_load_dwordx4 v[0:3], v[18:19], off offset:144
	s_waitcnt vmcnt(0) lgkmcnt(0)
	v_mul_f64 v[6:7], v[10:11], v[2:3]
	v_mul_f64 v[2:3], v[8:9], v[2:3]
	v_fma_f64 v[6:7], v[8:9], v[0:1], v[6:7]
	v_fma_f64 v[2:3], v[0:1], v[10:11], -v[2:3]
	v_mul_f64 v[0:1], v[6:7], s[4:5]
	v_mul_f64 v[2:3], v[2:3], s[4:5]
	global_store_dwordx4 v[12:13], v[0:3], off
	global_load_dwordx4 v[0:3], v[18:19], off offset:528
	ds_read_b128 v[4:7], v108 offset:2576
	ds_read_b128 v[8:11], v108 offset:2960
	s_waitcnt vmcnt(0) lgkmcnt(1)
	v_mul_f64 v[14:15], v[6:7], v[2:3]
	v_mul_f64 v[2:3], v[4:5], v[2:3]
	v_fma_f64 v[4:5], v[4:5], v[0:1], v[14:15]
	v_fma_f64 v[2:3], v[0:1], v[6:7], -v[2:3]
	v_mul_f64 v[0:1], v[4:5], s[4:5]
	v_mul_f64 v[2:3], v[2:3], s[4:5]
	v_add_co_u32 v4, vcc_lo, v12, s2
	v_add_co_ci_u32_e32 v5, vcc_lo, s3, v13, vcc_lo
	v_add_co_u32 v12, vcc_lo, v4, s2
	v_add_co_ci_u32_e32 v13, vcc_lo, s3, v5, vcc_lo
	global_store_dwordx4 v[4:5], v[0:3], off
	global_load_dwordx4 v[0:3], v[18:19], off offset:912
	s_waitcnt vmcnt(0) lgkmcnt(0)
	v_mul_f64 v[6:7], v[10:11], v[2:3]
	v_mul_f64 v[2:3], v[8:9], v[2:3]
	v_fma_f64 v[6:7], v[8:9], v[0:1], v[6:7]
	v_fma_f64 v[2:3], v[0:1], v[10:11], -v[2:3]
	v_mul_f64 v[0:1], v[6:7], s[4:5]
	v_mul_f64 v[2:3], v[2:3], s[4:5]
	global_store_dwordx4 v[12:13], v[0:3], off
	global_load_dwordx4 v[0:3], v[18:19], off offset:1296
	ds_read_b128 v[4:7], v108 offset:3344
	ds_read_b128 v[8:11], v108 offset:3728
	s_waitcnt vmcnt(0) lgkmcnt(1)
	v_mul_f64 v[14:15], v[6:7], v[2:3]
	v_mul_f64 v[2:3], v[4:5], v[2:3]
	v_fma_f64 v[4:5], v[4:5], v[0:1], v[14:15]
	v_fma_f64 v[2:3], v[0:1], v[6:7], -v[2:3]
	v_mul_f64 v[0:1], v[4:5], s[4:5]
	v_mul_f64 v[2:3], v[2:3], s[4:5]
	v_add_co_u32 v4, vcc_lo, v12, s2
	v_add_co_ci_u32_e32 v5, vcc_lo, s3, v13, vcc_lo
	v_add_co_u32 v12, vcc_lo, v4, s2
	v_add_co_ci_u32_e32 v13, vcc_lo, s3, v5, vcc_lo
	global_store_dwordx4 v[4:5], v[0:3], off
	global_load_dwordx4 v[0:3], v[18:19], off offset:1680
	s_waitcnt vmcnt(0) lgkmcnt(0)
	v_mul_f64 v[6:7], v[10:11], v[2:3]
	v_mul_f64 v[2:3], v[8:9], v[2:3]
	v_fma_f64 v[6:7], v[8:9], v[0:1], v[6:7]
	v_fma_f64 v[2:3], v[0:1], v[10:11], -v[2:3]
	v_mul_f64 v[0:1], v[6:7], s[4:5]
	v_mul_f64 v[2:3], v[2:3], s[4:5]
	global_store_dwordx4 v[12:13], v[0:3], off
	s_clause 0x1
	buffer_load_dword v18, off, s[60:63], 0 offset:172
	buffer_load_dword v19, off, s[60:63], 0 offset:176
	s_waitcnt vmcnt(0)
	global_load_dwordx4 v[0:3], v[18:19], off offset:16
	ds_read_b128 v[4:7], v108 offset:4112
	ds_read_b128 v[8:11], v108 offset:4496
	s_waitcnt vmcnt(0) lgkmcnt(1)
	v_mul_f64 v[14:15], v[6:7], v[2:3]
	v_mul_f64 v[2:3], v[4:5], v[2:3]
	v_fma_f64 v[4:5], v[4:5], v[0:1], v[14:15]
	v_fma_f64 v[2:3], v[0:1], v[6:7], -v[2:3]
	v_mul_f64 v[0:1], v[4:5], s[4:5]
	v_mul_f64 v[2:3], v[2:3], s[4:5]
	v_add_co_u32 v4, vcc_lo, v12, s2
	v_add_co_ci_u32_e32 v5, vcc_lo, s3, v13, vcc_lo
	v_add_co_u32 v12, vcc_lo, v4, s2
	v_add_co_ci_u32_e32 v13, vcc_lo, s3, v5, vcc_lo
	global_store_dwordx4 v[4:5], v[0:3], off
	global_load_dwordx4 v[0:3], v[18:19], off offset:400
	s_waitcnt vmcnt(0) lgkmcnt(0)
	v_mul_f64 v[6:7], v[10:11], v[2:3]
	v_mul_f64 v[2:3], v[8:9], v[2:3]
	v_fma_f64 v[6:7], v[8:9], v[0:1], v[6:7]
	v_fma_f64 v[2:3], v[0:1], v[10:11], -v[2:3]
	v_mul_f64 v[0:1], v[6:7], s[4:5]
	v_mul_f64 v[2:3], v[2:3], s[4:5]
	global_store_dwordx4 v[12:13], v[0:3], off
	global_load_dwordx4 v[0:3], v[18:19], off offset:784
	ds_read_b128 v[4:7], v108 offset:4880
	ds_read_b128 v[8:11], v108 offset:5264
	s_waitcnt vmcnt(0) lgkmcnt(1)
	v_mul_f64 v[14:15], v[6:7], v[2:3]
	v_mul_f64 v[2:3], v[4:5], v[2:3]
	v_fma_f64 v[4:5], v[4:5], v[0:1], v[14:15]
	v_fma_f64 v[2:3], v[0:1], v[6:7], -v[2:3]
	v_mul_f64 v[0:1], v[4:5], s[4:5]
	v_mul_f64 v[2:3], v[2:3], s[4:5]
	v_add_co_u32 v4, vcc_lo, v12, s2
	v_add_co_ci_u32_e32 v5, vcc_lo, s3, v13, vcc_lo
	v_add_co_u32 v12, vcc_lo, v4, s2
	v_add_co_ci_u32_e32 v13, vcc_lo, s3, v5, vcc_lo
	global_store_dwordx4 v[4:5], v[0:3], off
	global_load_dwordx4 v[0:3], v[18:19], off offset:1168
	s_waitcnt vmcnt(0) lgkmcnt(0)
	v_mul_f64 v[6:7], v[10:11], v[2:3]
	v_mul_f64 v[2:3], v[8:9], v[2:3]
	v_fma_f64 v[6:7], v[8:9], v[0:1], v[6:7]
	v_fma_f64 v[2:3], v[0:1], v[10:11], -v[2:3]
	v_mul_f64 v[0:1], v[6:7], s[4:5]
	v_mul_f64 v[2:3], v[2:3], s[4:5]
	global_store_dwordx4 v[12:13], v[0:3], off
	global_load_dwordx4 v[0:3], v[18:19], off offset:1552
	ds_read_b128 v[4:7], v108 offset:5648
	ds_read_b128 v[8:11], v108 offset:6032
	s_waitcnt vmcnt(0) lgkmcnt(1)
	v_mul_f64 v[14:15], v[6:7], v[2:3]
	v_mul_f64 v[2:3], v[4:5], v[2:3]
	v_fma_f64 v[4:5], v[4:5], v[0:1], v[14:15]
	v_fma_f64 v[2:3], v[0:1], v[6:7], -v[2:3]
	v_mul_f64 v[0:1], v[4:5], s[4:5]
	v_mul_f64 v[2:3], v[2:3], s[4:5]
	v_add_co_u32 v4, vcc_lo, v12, s2
	v_add_co_ci_u32_e32 v5, vcc_lo, s3, v13, vcc_lo
	global_store_dwordx4 v[4:5], v[0:3], off
	global_load_dwordx4 v[0:3], v[18:19], off offset:1936
	s_waitcnt vmcnt(0) lgkmcnt(0)
	v_mul_f64 v[6:7], v[10:11], v[2:3]
	v_mul_f64 v[2:3], v[8:9], v[2:3]
	v_fma_f64 v[6:7], v[8:9], v[0:1], v[6:7]
	v_fma_f64 v[2:3], v[0:1], v[10:11], -v[2:3]
	v_add_co_u32 v8, vcc_lo, v4, s2
	v_add_co_ci_u32_e32 v9, vcc_lo, s3, v5, vcc_lo
	v_add_co_u32 v4, vcc_lo, 0x1800, v16
	v_add_co_ci_u32_e32 v5, vcc_lo, 0, v17, vcc_lo
	v_mul_f64 v[0:1], v[6:7], s[4:5]
	v_mul_f64 v[2:3], v[2:3], s[4:5]
	global_store_dwordx4 v[8:9], v[0:3], off
	global_load_dwordx4 v[0:3], v[4:5], off offset:272
	ds_read_b128 v[4:7], v108 offset:6416
	s_waitcnt vmcnt(0) lgkmcnt(0)
	v_mul_f64 v[10:11], v[6:7], v[2:3]
	v_mul_f64 v[2:3], v[4:5], v[2:3]
	v_fma_f64 v[4:5], v[4:5], v[0:1], v[10:11]
	v_fma_f64 v[2:3], v[0:1], v[6:7], -v[2:3]
	v_mul_f64 v[0:1], v[4:5], s[4:5]
	v_mul_f64 v[2:3], v[2:3], s[4:5]
	v_add_co_u32 v4, vcc_lo, v8, s2
	v_add_co_ci_u32_e32 v5, vcc_lo, s3, v9, vcc_lo
	global_store_dwordx4 v[4:5], v[0:3], off
.LBB0_15:
	s_endpgm
	.section	.rodata,"a",@progbits
	.p2align	6, 0x0
	.amdhsa_kernel bluestein_single_back_len408_dim1_dp_op_CI_CI
		.amdhsa_group_segment_fixed_size 19584
		.amdhsa_private_segment_fixed_size 1232
		.amdhsa_kernarg_size 104
		.amdhsa_user_sgpr_count 6
		.amdhsa_user_sgpr_private_segment_buffer 1
		.amdhsa_user_sgpr_dispatch_ptr 0
		.amdhsa_user_sgpr_queue_ptr 0
		.amdhsa_user_sgpr_kernarg_segment_ptr 1
		.amdhsa_user_sgpr_dispatch_id 0
		.amdhsa_user_sgpr_flat_scratch_init 0
		.amdhsa_user_sgpr_private_segment_size 0
		.amdhsa_wavefront_size32 1
		.amdhsa_uses_dynamic_stack 0
		.amdhsa_system_sgpr_private_segment_wavefront_offset 1
		.amdhsa_system_sgpr_workgroup_id_x 1
		.amdhsa_system_sgpr_workgroup_id_y 0
		.amdhsa_system_sgpr_workgroup_id_z 0
		.amdhsa_system_sgpr_workgroup_info 0
		.amdhsa_system_vgpr_workitem_id 0
		.amdhsa_next_free_vgpr 256
		.amdhsa_next_free_sgpr 64
		.amdhsa_reserve_vcc 1
		.amdhsa_reserve_flat_scratch 0
		.amdhsa_float_round_mode_32 0
		.amdhsa_float_round_mode_16_64 0
		.amdhsa_float_denorm_mode_32 3
		.amdhsa_float_denorm_mode_16_64 3
		.amdhsa_dx10_clamp 1
		.amdhsa_ieee_mode 1
		.amdhsa_fp16_overflow 0
		.amdhsa_workgroup_processor_mode 1
		.amdhsa_memory_ordered 1
		.amdhsa_forward_progress 0
		.amdhsa_shared_vgpr_count 0
		.amdhsa_exception_fp_ieee_invalid_op 0
		.amdhsa_exception_fp_denorm_src 0
		.amdhsa_exception_fp_ieee_div_zero 0
		.amdhsa_exception_fp_ieee_overflow 0
		.amdhsa_exception_fp_ieee_underflow 0
		.amdhsa_exception_fp_ieee_inexact 0
		.amdhsa_exception_int_div_zero 0
	.end_amdhsa_kernel
	.text
.Lfunc_end0:
	.size	bluestein_single_back_len408_dim1_dp_op_CI_CI, .Lfunc_end0-bluestein_single_back_len408_dim1_dp_op_CI_CI
                                        ; -- End function
	.section	.AMDGPU.csdata,"",@progbits
; Kernel info:
; codeLenInByte = 50892
; NumSgprs: 66
; NumVgprs: 256
; ScratchSize: 1232
; MemoryBound: 0
; FloatMode: 240
; IeeeMode: 1
; LDSByteSize: 19584 bytes/workgroup (compile time only)
; SGPRBlocks: 8
; VGPRBlocks: 31
; NumSGPRsForWavesPerEU: 66
; NumVGPRsForWavesPerEU: 256
; Occupancy: 3
; WaveLimiterHint : 1
; COMPUTE_PGM_RSRC2:SCRATCH_EN: 1
; COMPUTE_PGM_RSRC2:USER_SGPR: 6
; COMPUTE_PGM_RSRC2:TRAP_HANDLER: 0
; COMPUTE_PGM_RSRC2:TGID_X_EN: 1
; COMPUTE_PGM_RSRC2:TGID_Y_EN: 0
; COMPUTE_PGM_RSRC2:TGID_Z_EN: 0
; COMPUTE_PGM_RSRC2:TIDIG_COMP_CNT: 0
	.text
	.p2alignl 6, 3214868480
	.fill 48, 4, 3214868480
	.type	__hip_cuid_cabca9a87f595f34,@object ; @__hip_cuid_cabca9a87f595f34
	.section	.bss,"aw",@nobits
	.globl	__hip_cuid_cabca9a87f595f34
__hip_cuid_cabca9a87f595f34:
	.byte	0                               ; 0x0
	.size	__hip_cuid_cabca9a87f595f34, 1

	.ident	"AMD clang version 19.0.0git (https://github.com/RadeonOpenCompute/llvm-project roc-6.4.0 25133 c7fe45cf4b819c5991fe208aaa96edf142730f1d)"
	.section	".note.GNU-stack","",@progbits
	.addrsig
	.addrsig_sym __hip_cuid_cabca9a87f595f34
	.amdgpu_metadata
---
amdhsa.kernels:
  - .args:
      - .actual_access:  read_only
        .address_space:  global
        .offset:         0
        .size:           8
        .value_kind:     global_buffer
      - .actual_access:  read_only
        .address_space:  global
        .offset:         8
        .size:           8
        .value_kind:     global_buffer
      - .actual_access:  read_only
        .address_space:  global
        .offset:         16
        .size:           8
        .value_kind:     global_buffer
      - .actual_access:  read_only
        .address_space:  global
        .offset:         24
        .size:           8
        .value_kind:     global_buffer
      - .actual_access:  read_only
        .address_space:  global
        .offset:         32
        .size:           8
        .value_kind:     global_buffer
      - .offset:         40
        .size:           8
        .value_kind:     by_value
      - .address_space:  global
        .offset:         48
        .size:           8
        .value_kind:     global_buffer
      - .address_space:  global
        .offset:         56
        .size:           8
        .value_kind:     global_buffer
      - .address_space:  global
        .offset:         64
        .size:           8
        .value_kind:     global_buffer
      - .address_space:  global
        .offset:         72
        .size:           8
        .value_kind:     global_buffer
      - .offset:         80
        .size:           4
        .value_kind:     by_value
      - .address_space:  global
        .offset:         88
        .size:           8
        .value_kind:     global_buffer
      - .address_space:  global
        .offset:         96
        .size:           8
        .value_kind:     global_buffer
    .group_segment_fixed_size: 19584
    .kernarg_segment_align: 8
    .kernarg_segment_size: 104
    .language:       OpenCL C
    .language_version:
      - 2
      - 0
    .max_flat_workgroup_size: 51
    .name:           bluestein_single_back_len408_dim1_dp_op_CI_CI
    .private_segment_fixed_size: 1232
    .sgpr_count:     66
    .sgpr_spill_count: 0
    .symbol:         bluestein_single_back_len408_dim1_dp_op_CI_CI.kd
    .uniform_work_group_size: 1
    .uses_dynamic_stack: false
    .vgpr_count:     256
    .vgpr_spill_count: 413
    .wavefront_size: 32
    .workgroup_processor_mode: 1
amdhsa.target:   amdgcn-amd-amdhsa--gfx1030
amdhsa.version:
  - 1
  - 2
...

	.end_amdgpu_metadata
